;; amdgpu-corpus repo=ROCm/rocFFT kind=compiled arch=gfx906 opt=O3
	.text
	.amdgcn_target "amdgcn-amd-amdhsa--gfx906"
	.amdhsa_code_object_version 6
	.protected	bluestein_single_fwd_len100_dim1_half_op_CI_CI ; -- Begin function bluestein_single_fwd_len100_dim1_half_op_CI_CI
	.globl	bluestein_single_fwd_len100_dim1_half_op_CI_CI
	.p2align	8
	.type	bluestein_single_fwd_len100_dim1_half_op_CI_CI,@function
bluestein_single_fwd_len100_dim1_half_op_CI_CI: ; @bluestein_single_fwd_len100_dim1_half_op_CI_CI
; %bb.0:
	v_mul_u32_u24_e32 v1, 0x199a, v0
	s_load_dwordx4 s[16:19], s[4:5], 0x28
	v_lshrrev_b32_e32 v1, 16, v1
	v_mad_u64_u32 v[8:9], s[0:1], s6, 6, v[1:2]
	v_mov_b32_e32 v9, 0
	s_waitcnt lgkmcnt(0)
	v_cmp_gt_u64_e32 vcc, s[16:17], v[8:9]
	s_and_saveexec_b64 s[0:1], vcc
	s_cbranch_execz .LBB0_2
; %bb.1:
	s_load_dwordx4 s[8:11], s[4:5], 0x18
	v_mul_lo_u16_e32 v1, 10, v1
	v_sub_u16_e32 v20, v0, v1
	v_mov_b32_e32 v7, s19
	v_lshlrev_b32_e32 v24, 2, v20
	s_waitcnt lgkmcnt(0)
	s_load_dwordx4 s[12:15], s[8:9], 0x0
	v_or_b32_e32 v11, 0x50, v20
	v_mov_b32_e32 v9, 0x50
	s_mov_b32 s16, 0xbb9c
	s_movk_i32 s17, 0x3a79
	s_waitcnt lgkmcnt(0)
	v_mad_u64_u32 v[0:1], s[0:1], s14, v8, 0
	v_mad_u64_u32 v[2:3], s[0:1], s12, v20, 0
	s_load_dwordx4 s[0:3], s[4:5], 0x0
	s_mul_i32 s8, s13, 40
	v_mad_u64_u32 v[4:5], s[6:7], s15, v8, v[1:2]
	s_mul_hi_u32 s9, s12, 40
	s_load_dwordx2 s[4:5], s[4:5], 0x38
	v_mad_u64_u32 v[5:6], s[6:7], s13, v20, v[3:4]
	v_mov_b32_e32 v1, v4
	v_lshlrev_b64 v[0:1], 2, v[0:1]
	v_mov_b32_e32 v3, v5
	v_add_co_u32_e32 v6, vcc, s18, v0
	v_addc_co_u32_e32 v7, vcc, v7, v1, vcc
	v_lshlrev_b64 v[0:1], 2, v[2:3]
	s_waitcnt lgkmcnt(0)
	s_add_u32 s6, s0, 0x190
	v_add_co_u32_e32 v0, vcc, v6, v0
	v_addc_co_u32_e32 v1, vcc, v7, v1, vcc
	s_addc_u32 s7, s1, 0
	global_load_dword v13, v[0:1], off
	s_add_i32 s9, s9, s8
	s_mul_i32 s8, s12, 40
	v_mov_b32_e32 v2, s9
	v_add_co_u32_e32 v0, vcc, s8, v0
	v_addc_co_u32_e32 v1, vcc, v1, v2, vcc
	global_load_dword v23, v[0:1], off
	global_load_dword v22, v24, s[0:1]
	global_load_dword v21, v24, s[0:1] offset:40
	global_load_dword v19, v24, s[0:1] offset:80
	v_add_co_u32_e32 v0, vcc, s8, v0
	v_addc_co_u32_e32 v1, vcc, v1, v2, vcc
	v_mov_b32_e32 v3, s9
	v_add_co_u32_e32 v2, vcc, s8, v0
	v_addc_co_u32_e32 v3, vcc, v1, v3, vcc
	v_mov_b32_e32 v5, s9
	v_add_co_u32_e32 v4, vcc, s8, v2
	v_addc_co_u32_e32 v5, vcc, v3, v5, vcc
	global_load_dword v25, v[0:1], off
	global_load_dword v26, v[2:3], off
	;; [unrolled: 1-line block ×3, first 2 shown]
	v_mov_b32_e32 v1, s9
	v_add_co_u32_e32 v0, vcc, s8, v4
	v_addc_co_u32_e32 v1, vcc, v5, v1, vcc
	global_load_dword v5, v[0:1], off
	global_load_dword v18, v24, s[0:1] offset:120
	global_load_dword v17, v24, s[0:1] offset:160
	;; [unrolled: 1-line block ×3, first 2 shown]
	v_mov_b32_e32 v2, s9
	v_add_co_u32_e32 v0, vcc, s8, v0
	v_addc_co_u32_e32 v1, vcc, v1, v2, vcc
	v_mad_u64_u32 v[2:3], s[14:15], s12, v11, 0
	global_load_dword v28, v[0:1], off
	v_mov_b32_e32 v4, s9
	v_add_co_u32_e32 v0, vcc, s8, v0
	v_addc_co_u32_e32 v1, vcc, v1, v4, vcc
	v_mad_u64_u32 v[3:4], s[8:9], s13, v11, v[3:4]
	global_load_dword v15, v24, s[0:1] offset:240
	global_load_dword v4, v[0:1], off
	global_load_dword v14, v24, s[0:1] offset:280
	v_mad_u64_u32 v[0:1], s[8:9], s12, v9, v[0:1]
	v_lshlrev_b64 v[2:3], 2, v[2:3]
	global_load_dword v12, v24, s[0:1] offset:320
	v_add_co_u32_e32 v2, vcc, v6, v2
	v_addc_co_u32_e32 v3, vcc, v7, v3, vcc
	global_load_dword v2, v[2:3], off
	s_mul_i32 s8, s13, 0x50
	v_add_u32_e32 v1, s8, v1
	global_load_dword v3, v[0:1], off
	global_load_dword v10, v24, s[0:1] offset:360
	s_mov_b32 s8, 0xaaaaaaab
	v_mul_hi_u32 v0, v8, s8
	s_load_dwordx4 s[8:11], s[10:11], 0x0
	s_movk_i32 s12, 0x3b9c
	s_movk_i32 s13, 0x38b4
	v_lshrrev_b32_e32 v0, 2, v0
	v_mul_lo_u32 v0, v0, 6
	s_mov_b32 s15, 0xb8b4
	s_movk_i32 s14, 0x34f2
	v_sub_u32_e32 v0, v8, v0
	v_mul_u32_u24_e32 v0, 0x64, v0
	v_lshlrev_b32_e32 v0, 2, v0
	s_waitcnt vmcnt(19)
	v_lshrrev_b32_e32 v1, 16, v13
	s_waitcnt vmcnt(17)
	v_mul_f16_sdwa v6, v22, v1 dst_sel:DWORD dst_unused:UNUSED_PAD src0_sel:WORD_1 src1_sel:DWORD
	v_mul_f16_sdwa v7, v22, v13 dst_sel:DWORD dst_unused:UNUSED_PAD src0_sel:WORD_1 src1_sel:DWORD
	v_fma_f16 v6, v22, v13, v6
	v_fma_f16 v1, v22, v1, -v7
	v_pack_b32_f16 v1, v6, v1
	v_lshrrev_b32_e32 v6, 16, v23
	s_waitcnt vmcnt(16)
	v_mul_f16_sdwa v7, v21, v6 dst_sel:DWORD dst_unused:UNUSED_PAD src0_sel:WORD_1 src1_sel:DWORD
	v_fma_f16 v7, v21, v23, v7
	v_mul_f16_sdwa v23, v21, v23 dst_sel:DWORD dst_unused:UNUSED_PAD src0_sel:WORD_1 src1_sel:DWORD
	v_fma_f16 v6, v21, v6, -v23
	v_add_u32_e32 v13, v24, v0
	v_pack_b32_f16 v6, v7, v6
	ds_write2_b32 v13, v1, v6 offset1:10
	s_waitcnt vmcnt(14)
	v_lshrrev_b32_e32 v1, 16, v25
	v_mul_f16_sdwa v6, v19, v1 dst_sel:DWORD dst_unused:UNUSED_PAD src0_sel:WORD_1 src1_sel:DWORD
	v_mul_f16_sdwa v7, v19, v25 dst_sel:DWORD dst_unused:UNUSED_PAD src0_sel:WORD_1 src1_sel:DWORD
	v_fma_f16 v6, v19, v25, v6
	v_fma_f16 v1, v19, v1, -v7
	v_pack_b32_f16 v1, v6, v1
	s_waitcnt vmcnt(13)
	v_lshrrev_b32_e32 v6, 16, v26
	s_waitcnt vmcnt(10)
	v_mul_f16_sdwa v7, v18, v6 dst_sel:DWORD dst_unused:UNUSED_PAD src0_sel:WORD_1 src1_sel:DWORD
	v_mul_f16_sdwa v23, v18, v26 dst_sel:DWORD dst_unused:UNUSED_PAD src0_sel:WORD_1 src1_sel:DWORD
	v_fma_f16 v7, v18, v26, v7
	v_fma_f16 v6, v18, v6, -v23
	v_pack_b32_f16 v6, v7, v6
	ds_write2_b32 v13, v1, v6 offset0:20 offset1:30
	v_lshrrev_b32_e32 v1, 16, v27
	s_waitcnt vmcnt(9)
	v_mul_f16_sdwa v6, v17, v1 dst_sel:DWORD dst_unused:UNUSED_PAD src0_sel:WORD_1 src1_sel:DWORD
	v_mul_f16_sdwa v7, v17, v27 dst_sel:DWORD dst_unused:UNUSED_PAD src0_sel:WORD_1 src1_sel:DWORD
	v_fma_f16 v6, v17, v27, v6
	v_fma_f16 v1, v17, v1, -v7
	v_pack_b32_f16 v1, v6, v1
	v_lshrrev_b32_e32 v6, 16, v5
	s_waitcnt vmcnt(8)
	v_mul_f16_sdwa v7, v16, v6 dst_sel:DWORD dst_unused:UNUSED_PAD src0_sel:WORD_1 src1_sel:DWORD
	v_fma_f16 v7, v16, v5, v7
	v_mul_f16_sdwa v5, v16, v5 dst_sel:DWORD dst_unused:UNUSED_PAD src0_sel:WORD_1 src1_sel:DWORD
	v_fma_f16 v5, v16, v6, -v5
	v_pack_b32_f16 v5, v7, v5
	ds_write2_b32 v13, v1, v5 offset0:40 offset1:50
	s_waitcnt vmcnt(7)
	v_lshrrev_b32_e32 v1, 16, v28
	s_waitcnt vmcnt(6)
	v_mul_f16_sdwa v5, v15, v1 dst_sel:DWORD dst_unused:UNUSED_PAD src0_sel:WORD_1 src1_sel:DWORD
	v_mul_f16_sdwa v6, v15, v28 dst_sel:DWORD dst_unused:UNUSED_PAD src0_sel:WORD_1 src1_sel:DWORD
	v_fma_f16 v5, v15, v28, v5
	v_fma_f16 v1, v15, v1, -v6
	v_pack_b32_f16 v1, v5, v1
	s_waitcnt vmcnt(5)
	v_lshrrev_b32_e32 v5, 16, v4
	s_waitcnt vmcnt(4)
	v_mul_f16_sdwa v6, v14, v5 dst_sel:DWORD dst_unused:UNUSED_PAD src0_sel:WORD_1 src1_sel:DWORD
	v_fma_f16 v6, v14, v4, v6
	v_mul_f16_sdwa v4, v14, v4 dst_sel:DWORD dst_unused:UNUSED_PAD src0_sel:WORD_1 src1_sel:DWORD
	v_fma_f16 v4, v14, v5, -v4
	v_pack_b32_f16 v4, v6, v4
	ds_write2_b32 v13, v1, v4 offset0:60 offset1:70
	s_waitcnt vmcnt(2)
	v_lshrrev_b32_e32 v1, 16, v2
	v_mul_f16_sdwa v4, v12, v1 dst_sel:DWORD dst_unused:UNUSED_PAD src0_sel:WORD_1 src1_sel:DWORD
	v_fma_f16 v4, v12, v2, v4
	v_mul_f16_sdwa v2, v12, v2 dst_sel:DWORD dst_unused:UNUSED_PAD src0_sel:WORD_1 src1_sel:DWORD
	v_fma_f16 v1, v12, v1, -v2
	s_waitcnt vmcnt(1)
	v_lshrrev_b32_e32 v2, 16, v3
	v_pack_b32_f16 v1, v4, v1
	s_waitcnt vmcnt(0)
	v_mul_f16_sdwa v4, v10, v2 dst_sel:DWORD dst_unused:UNUSED_PAD src0_sel:WORD_1 src1_sel:DWORD
	v_fma_f16 v4, v10, v3, v4
	v_mul_f16_sdwa v3, v10, v3 dst_sel:DWORD dst_unused:UNUSED_PAD src0_sel:WORD_1 src1_sel:DWORD
	v_fma_f16 v2, v10, v2, -v3
	v_pack_b32_f16 v2, v4, v2
	ds_write2_b32 v13, v1, v2 offset0:80 offset1:90
	s_waitcnt lgkmcnt(0)
	; wave barrier
	s_waitcnt lgkmcnt(0)
	ds_read2_b32 v[1:2], v13 offset1:10
	ds_read2_b32 v[3:4], v13 offset0:40 offset1:50
	ds_read2_b32 v[5:6], v13 offset0:60 offset1:70
	ds_read2_b32 v[25:26], v13 offset0:20 offset1:30
	ds_read2_b32 v[27:28], v13 offset0:80 offset1:90
	v_mul_lo_u16_e32 v7, 10, v20
	v_lshl_add_u32 v23, v7, 2, v0
	s_waitcnt lgkmcnt(2)
	v_add_f16_e32 v0, v3, v5
	v_fma_f16 v0, v0, -0.5, v1
	s_waitcnt lgkmcnt(0)
	v_sub_f16_sdwa v7, v25, v27 dst_sel:DWORD dst_unused:UNUSED_PAD src0_sel:WORD_1 src1_sel:WORD_1
	v_fma_f16 v29, v7, s12, v0
	v_sub_f16_sdwa v30, v3, v5 dst_sel:DWORD dst_unused:UNUSED_PAD src0_sel:WORD_1 src1_sel:WORD_1
	v_sub_f16_e32 v31, v27, v5
	v_sub_f16_e32 v32, v25, v3
	v_fma_f16 v0, v7, s16, v0
	v_fma_f16 v29, v30, s13, v29
	v_add_f16_e32 v31, v32, v31
	v_fma_f16 v0, v30, s15, v0
	v_fma_f16 v29, v31, s14, v29
	;; [unrolled: 1-line block ×3, first 2 shown]
	v_add_f16_e32 v0, v25, v27
	v_fma_f16 v0, v0, -0.5, v1
	v_fma_f16 v32, v30, s16, v0
	v_sub_f16_e32 v33, v5, v27
	v_sub_f16_e32 v34, v3, v25
	v_fma_f16 v0, v30, s12, v0
	v_add_f16_e32 v33, v34, v33
	v_fma_f16 v0, v7, s15, v0
	v_fma_f16 v32, v7, s13, v32
	;; [unrolled: 1-line block ×3, first 2 shown]
	v_pk_add_f16 v0, v1, v25
	v_add_f16_sdwa v30, v3, v5 dst_sel:DWORD dst_unused:UNUSED_PAD src0_sel:WORD_1 src1_sel:WORD_1
	v_lshrrev_b32_e32 v1, 16, v1
	v_fma_f16 v32, v33, s14, v32
	v_fma_f16 v30, v30, -0.5, v1
	v_sub_f16_e32 v33, v25, v27
	v_fma_f16 v34, v33, s16, v30
	v_sub_f16_e32 v35, v3, v5
	v_sub_f16_sdwa v36, v25, v3 dst_sel:DWORD dst_unused:UNUSED_PAD src0_sel:WORD_1 src1_sel:WORD_1
	v_sub_f16_sdwa v37, v27, v5 dst_sel:DWORD dst_unused:UNUSED_PAD src0_sel:WORD_1 src1_sel:WORD_1
	v_fma_f16 v30, v33, s12, v30
	v_fma_f16 v34, v35, s15, v34
	v_add_f16_e32 v36, v36, v37
	v_fma_f16 v30, v35, s13, v30
	v_fma_f16 v34, v36, s14, v34
	v_fma_f16 v30, v36, s14, v30
	v_add_f16_sdwa v36, v25, v27 dst_sel:DWORD dst_unused:UNUSED_PAD src0_sel:WORD_1 src1_sel:WORD_1
	v_pk_add_f16 v0, v0, v3
	v_fma_f16 v1, v36, -0.5, v1
	v_pk_add_f16 v0, v0, v5
	v_fma_f16 v36, v35, s12, v1
	v_sub_f16_sdwa v3, v3, v25 dst_sel:DWORD dst_unused:UNUSED_PAD src0_sel:WORD_1 src1_sel:WORD_1
	v_sub_f16_sdwa v5, v5, v27 dst_sel:DWORD dst_unused:UNUSED_PAD src0_sel:WORD_1 src1_sel:WORD_1
	v_fma_f16 v1, v35, s16, v1
	v_fma_f16 v36, v33, s15, v36
	v_add_f16_e32 v3, v3, v5
	v_fma_f16 v1, v33, s13, v1
	v_fma_f16 v5, v3, s14, v36
	;; [unrolled: 1-line block ×3, first 2 shown]
	v_add_f16_e32 v1, v4, v6
	v_fma_f16 v1, v1, -0.5, v2
	v_sub_f16_sdwa v25, v26, v28 dst_sel:DWORD dst_unused:UNUSED_PAD src0_sel:WORD_1 src1_sel:WORD_1
	v_pk_add_f16 v0, v0, v27
	v_fma_f16 v27, v25, s12, v1
	v_sub_f16_sdwa v33, v4, v6 dst_sel:DWORD dst_unused:UNUSED_PAD src0_sel:WORD_1 src1_sel:WORD_1
	v_sub_f16_e32 v35, v28, v6
	v_sub_f16_e32 v36, v26, v4
	v_fma_f16 v1, v25, s16, v1
	v_fma_f16 v27, v33, s13, v27
	v_add_f16_e32 v35, v36, v35
	v_fma_f16 v1, v33, s15, v1
	v_fma_f16 v27, v35, s14, v27
	;; [unrolled: 1-line block ×3, first 2 shown]
	v_add_f16_e32 v1, v26, v28
	v_fma_f16 v1, v1, -0.5, v2
	v_fma_f16 v36, v33, s16, v1
	v_sub_f16_e32 v37, v6, v28
	v_sub_f16_e32 v38, v4, v26
	v_fma_f16 v1, v33, s12, v1
	v_add_f16_e32 v37, v38, v37
	v_fma_f16 v1, v25, s15, v1
	v_fma_f16 v36, v25, s13, v36
	;; [unrolled: 1-line block ×3, first 2 shown]
	v_pk_add_f16 v1, v2, v26
	v_pk_add_f16 v1, v1, v4
	;; [unrolled: 1-line block ×4, first 2 shown]
	v_add_f16_sdwa v1, v4, v6 dst_sel:DWORD dst_unused:UNUSED_PAD src0_sel:WORD_1 src1_sel:WORD_1
	v_lshrrev_b32_e32 v2, 16, v2
	v_fma_f16 v36, v37, s14, v36
	v_fma_f16 v1, v1, -0.5, v2
	v_sub_f16_e32 v37, v26, v28
	v_fma_f16 v38, v37, s16, v1
	v_sub_f16_e32 v39, v4, v6
	v_sub_f16_sdwa v40, v26, v4 dst_sel:DWORD dst_unused:UNUSED_PAD src0_sel:WORD_1 src1_sel:WORD_1
	v_sub_f16_sdwa v41, v28, v6 dst_sel:DWORD dst_unused:UNUSED_PAD src0_sel:WORD_1 src1_sel:WORD_1
	v_fma_f16 v1, v37, s12, v1
	v_fma_f16 v38, v39, s15, v38
	v_add_f16_e32 v40, v40, v41
	v_fma_f16 v1, v39, s13, v1
	v_fma_f16 v38, v40, s14, v38
	;; [unrolled: 1-line block ×3, first 2 shown]
	v_add_f16_sdwa v1, v26, v28 dst_sel:DWORD dst_unused:UNUSED_PAD src0_sel:WORD_1 src1_sel:WORD_1
	v_fma_f16 v1, v1, -0.5, v2
	v_fma_f16 v2, v39, s12, v1
	v_sub_f16_sdwa v4, v4, v26 dst_sel:DWORD dst_unused:UNUSED_PAD src0_sel:WORD_1 src1_sel:WORD_1
	v_sub_f16_sdwa v6, v6, v28 dst_sel:DWORD dst_unused:UNUSED_PAD src0_sel:WORD_1 src1_sel:WORD_1
	v_fma_f16 v1, v39, s16, v1
	v_fma_f16 v2, v37, s15, v2
	v_add_f16_e32 v4, v4, v6
	v_fma_f16 v1, v37, s13, v1
	v_fma_f16 v2, v4, s14, v2
	;; [unrolled: 1-line block ×3, first 2 shown]
	v_mul_f16_e32 v1, 0x3a79, v27
	v_fma_f16 v6, v38, s13, v1
	v_mul_f16_e32 v1, 0x3b9c, v2
	v_fma_f16 v28, v36, s14, v1
	;; [unrolled: 2-line block ×3, first 2 shown]
	v_mul_f16_e32 v27, 0xb8b4, v27
	v_mul_f16_e32 v36, 0xbb9c, v36
	;; [unrolled: 1-line block ×4, first 2 shown]
	v_fma_f16 v27, v38, s17, v27
	v_fma_f16 v2, v2, s14, v36
	;; [unrolled: 1-line block ×3, first 2 shown]
	v_add_f16_e32 v26, v29, v6
	v_add_f16_e32 v37, v32, v28
	v_add_f16_e32 v41, v7, v39
	v_fma_f16 v42, v40, s13, v1
	v_add_f16_e32 v38, v34, v27
	v_add_f16_e32 v36, v5, v2
	;; [unrolled: 1-line block ×4, first 2 shown]
	v_pk_add_f16 v1, v0, v33
	v_mul_f16_e32 v40, 0xba79, v40
	v_sub_f16_e32 v6, v29, v6
	v_sub_f16_e32 v29, v31, v42
	;; [unrolled: 1-line block ×5, first 2 shown]
	v_pack_b32_f16 v2, v26, v38
	v_pack_b32_f16 v4, v41, v25
	;; [unrolled: 1-line block ×3, first 2 shown]
	v_fma_f16 v35, v35, s15, v40
	s_waitcnt lgkmcnt(0)
	; wave barrier
	ds_write2_b64 v23, v[1:2], v[3:4] offset1:1
	v_pack_b32_f16 v2, v6, v27
	v_mad_u64_u32 v[26:27], s[2:3], v20, 36, s[2:3]
	v_add_f16_e32 v40, v30, v35
	v_sub_f16_e32 v28, v32, v28
	v_sub_f16_e32 v7, v7, v39
	;; [unrolled: 1-line block ×3, first 2 shown]
	v_pk_add_f16 v1, v0, v33 neg_lo:[0,1] neg_hi:[0,1]
	v_pack_b32_f16 v3, v28, v5
	v_pack_b32_f16 v0, v43, v40
	ds_write2_b64 v23, v[0:1], v[2:3] offset0:2 offset1:3
	v_pack_b32_f16 v1, v29, v30
	v_pack_b32_f16 v0, v7, v31
	ds_write_b64 v23, v[0:1] offset:32
	s_waitcnt lgkmcnt(0)
	; wave barrier
	s_waitcnt lgkmcnt(0)
	global_load_dwordx4 v[0:3], v[26:27], off
	global_load_dwordx4 v[4:7], v[26:27], off offset:16
	global_load_dword v25, v[26:27], off offset:32
	ds_read2_b32 v[26:27], v13 offset1:10
	ds_read2_b32 v[28:29], v13 offset0:20 offset1:30
	ds_read2_b32 v[30:31], v13 offset0:40 offset1:50
	;; [unrolled: 1-line block ×4, first 2 shown]
	s_waitcnt lgkmcnt(4)
	v_lshrrev_b32_e32 v37, 16, v27
	s_waitcnt lgkmcnt(3)
	v_lshrrev_b32_e32 v38, 16, v28
	v_lshrrev_b32_e32 v39, 16, v29
	s_waitcnt lgkmcnt(2)
	v_lshrrev_b32_e32 v40, 16, v30
	;; [unrolled: 3-line block ×4, first 2 shown]
	v_lshrrev_b32_e32 v45, 16, v35
	v_lshrrev_b32_e32 v36, 16, v26
	s_mov_b32 s2, 0x47ae147b
	s_mov_b32 s3, 0x3f847ae1
	s_waitcnt vmcnt(2)
	v_mul_f16_sdwa v46, v37, v0 dst_sel:DWORD dst_unused:UNUSED_PAD src0_sel:DWORD src1_sel:WORD_1
	v_fma_f16 v46, v27, v0, -v46
	v_mul_f16_sdwa v27, v27, v0 dst_sel:DWORD dst_unused:UNUSED_PAD src0_sel:DWORD src1_sel:WORD_1
	v_fma_f16 v27, v37, v0, v27
	v_mul_f16_sdwa v37, v38, v1 dst_sel:DWORD dst_unused:UNUSED_PAD src0_sel:DWORD src1_sel:WORD_1
	v_fma_f16 v37, v28, v1, -v37
	v_mul_f16_sdwa v28, v28, v1 dst_sel:DWORD dst_unused:UNUSED_PAD src0_sel:DWORD src1_sel:WORD_1
	v_fma_f16 v28, v38, v1, v28
	;; [unrolled: 4-line block ×4, first 2 shown]
	s_waitcnt vmcnt(1)
	v_mul_f16_sdwa v40, v41, v4 dst_sel:DWORD dst_unused:UNUSED_PAD src0_sel:DWORD src1_sel:WORD_1
	v_fma_f16 v40, v31, v4, -v40
	v_mul_f16_sdwa v31, v31, v4 dst_sel:DWORD dst_unused:UNUSED_PAD src0_sel:DWORD src1_sel:WORD_1
	v_fma_f16 v31, v41, v4, v31
	v_mul_f16_sdwa v41, v42, v5 dst_sel:DWORD dst_unused:UNUSED_PAD src0_sel:DWORD src1_sel:WORD_1
	v_fma_f16 v41, v32, v5, -v41
	v_mul_f16_sdwa v32, v32, v5 dst_sel:DWORD dst_unused:UNUSED_PAD src0_sel:DWORD src1_sel:WORD_1
	v_fma_f16 v32, v42, v5, v32
	;; [unrolled: 4-line block ×4, first 2 shown]
	v_add_f16_e32 v47, v39, v41
	v_fma_f16 v47, v47, -0.5, v26
	v_sub_f16_e32 v48, v28, v34
	v_fma_f16 v49, v48, s12, v47
	v_sub_f16_e32 v50, v30, v32
	v_sub_f16_e32 v51, v37, v39
	;; [unrolled: 1-line block ×3, first 2 shown]
	v_fma_f16 v47, v48, s16, v47
	s_waitcnt vmcnt(0)
	v_mul_f16_sdwa v44, v45, v25 dst_sel:DWORD dst_unused:UNUSED_PAD src0_sel:DWORD src1_sel:WORD_1
	v_fma_f16 v49, v50, s13, v49
	v_add_f16_e32 v51, v51, v52
	v_fma_f16 v47, v50, s15, v47
	v_fma_f16 v44, v35, v25, -v44
	v_mul_f16_sdwa v35, v35, v25 dst_sel:DWORD dst_unused:UNUSED_PAD src0_sel:DWORD src1_sel:WORD_1
	v_fma_f16 v49, v51, s14, v49
	v_fma_f16 v47, v51, s14, v47
	v_add_f16_e32 v51, v37, v43
	v_fma_f16 v35, v45, v25, v35
	v_add_f16_e32 v45, v26, v37
	v_fma_f16 v26, v51, -0.5, v26
	v_add_f16_e32 v45, v45, v39
	v_fma_f16 v51, v50, s16, v26
	v_fma_f16 v26, v50, s12, v26
	v_add_f16_e32 v50, v30, v32
	v_add_f16_e32 v45, v45, v41
	v_sub_f16_e32 v52, v39, v37
	v_sub_f16_e32 v53, v41, v43
	v_fma_f16 v50, v50, -0.5, v36
	v_sub_f16_e32 v37, v37, v43
	v_add_f16_e32 v45, v45, v43
	v_fma_f16 v51, v48, s13, v51
	v_add_f16_e32 v52, v52, v53
	v_fma_f16 v26, v48, s15, v26
	v_fma_f16 v43, v37, s16, v50
	v_sub_f16_e32 v39, v39, v41
	v_fma_f16 v51, v52, s14, v51
	v_fma_f16 v26, v52, s14, v26
	;; [unrolled: 1-line block ×3, first 2 shown]
	v_sub_f16_e32 v43, v28, v30
	v_sub_f16_e32 v52, v34, v32
	v_fma_f16 v50, v37, s12, v50
	v_add_f16_e32 v48, v36, v28
	v_add_f16_e32 v43, v43, v52
	v_fma_f16 v50, v39, s13, v50
	v_add_f16_e32 v48, v48, v30
	v_fma_f16 v41, v43, s14, v41
	v_fma_f16 v43, v43, s14, v50
	v_add_f16_e32 v50, v28, v34
	v_add_f16_e32 v48, v48, v32
	v_fma_f16 v36, v50, -0.5, v36
	v_add_f16_e32 v48, v48, v34
	v_fma_f16 v50, v39, s12, v36
	v_sub_f16_e32 v28, v30, v28
	v_sub_f16_e32 v30, v32, v34
	v_add_f16_e32 v34, v40, v42
	v_fma_f16 v50, v37, s15, v50
	v_add_f16_e32 v28, v28, v30
	v_fma_f16 v32, v39, s16, v36
	v_fma_f16 v34, v34, -0.5, v46
	v_sub_f16_e32 v36, v29, v35
	v_fma_f16 v30, v28, s14, v50
	v_fma_f16 v32, v37, s13, v32
	;; [unrolled: 1-line block ×3, first 2 shown]
	v_sub_f16_e32 v39, v31, v33
	v_sub_f16_e32 v50, v38, v40
	v_sub_f16_e32 v52, v44, v42
	v_fma_f16 v34, v36, s16, v34
	v_fma_f16 v37, v39, s13, v37
	v_add_f16_e32 v50, v50, v52
	v_fma_f16 v34, v39, s15, v34
	v_fma_f16 v37, v50, s14, v37
	;; [unrolled: 1-line block ×3, first 2 shown]
	v_add_f16_e32 v50, v38, v44
	v_fma_f16 v28, v28, s14, v32
	v_add_f16_e32 v32, v46, v38
	v_fma_f16 v46, v50, -0.5, v46
	v_add_f16_e32 v32, v32, v40
	v_fma_f16 v50, v39, s16, v46
	v_fma_f16 v39, v39, s12, v46
	v_add_f16_e32 v46, v31, v33
	v_add_f16_e32 v32, v32, v42
	v_sub_f16_e32 v52, v40, v38
	v_sub_f16_e32 v53, v42, v44
	v_fma_f16 v46, v46, -0.5, v27
	v_sub_f16_e32 v38, v38, v44
	v_add_f16_e32 v32, v32, v44
	v_fma_f16 v50, v36, s13, v50
	v_add_f16_e32 v52, v52, v53
	v_fma_f16 v36, v36, s15, v39
	v_fma_f16 v44, v38, s16, v46
	v_sub_f16_e32 v40, v40, v42
	v_fma_f16 v50, v52, s14, v50
	v_fma_f16 v36, v52, s14, v36
	v_fma_f16 v42, v40, s15, v44
	v_sub_f16_e32 v44, v29, v31
	v_sub_f16_e32 v52, v35, v33
	v_fma_f16 v46, v38, s12, v46
	v_add_f16_e32 v44, v44, v52
	v_fma_f16 v46, v40, s13, v46
	v_fma_f16 v42, v44, s14, v42
	;; [unrolled: 1-line block ×3, first 2 shown]
	v_add_f16_e32 v46, v29, v35
	v_add_f16_e32 v39, v27, v29
	v_fma_f16 v27, v46, -0.5, v27
	v_add_f16_e32 v39, v39, v31
	v_fma_f16 v46, v40, s12, v27
	v_sub_f16_e32 v29, v31, v29
	v_sub_f16_e32 v31, v33, v35
	v_fma_f16 v46, v38, s15, v46
	v_add_f16_e32 v29, v29, v31
	v_fma_f16 v27, v40, s16, v27
	v_add_f16_e32 v39, v39, v33
	v_fma_f16 v31, v29, s14, v46
	v_fma_f16 v27, v38, s13, v27
	v_mul_f16_e32 v33, 0x38b4, v42
	v_fma_f16 v27, v29, s14, v27
	v_fma_f16 v33, v37, s17, v33
	v_mul_f16_e32 v38, 0x3b9c, v31
	v_mul_f16_e32 v46, 0xb4f2, v36
	;; [unrolled: 1-line block ×3, first 2 shown]
	v_add_f16_e32 v39, v39, v35
	v_fma_f16 v38, v50, s14, v38
	v_fma_f16 v46, v27, s12, v46
	v_mul_f16_e32 v53, 0xba79, v34
	v_fma_f16 v37, v42, s17, v37
	v_mul_f16_e32 v50, 0xbb9c, v50
	v_mul_f16_e32 v27, 0xb4f2, v27
	v_add_f16_e32 v29, v45, v32
	v_add_f16_e32 v35, v49, v33
	v_fma_f16 v53, v44, s13, v53
	v_add_f16_e32 v55, v48, v39
	v_add_f16_e32 v42, v41, v37
	v_fma_f16 v31, v31, s14, v50
	v_fma_f16 v27, v36, s16, v27
	v_mul_f16_e32 v44, 0xba79, v44
	v_add_f16_e32 v40, v51, v38
	v_add_f16_e32 v52, v26, v46
	;; [unrolled: 1-line block ×4, first 2 shown]
	v_fma_f16 v34, v34, s15, v44
	v_sub_f16_e32 v30, v30, v31
	v_pack_b32_f16 v29, v29, v55
	v_pack_b32_f16 v31, v35, v42
	v_add_f16_e32 v54, v47, v53
	v_add_f16_e32 v44, v43, v34
	v_sub_f16_e32 v32, v45, v32
	v_sub_f16_e32 v39, v48, v39
	ds_write2_b32 v13, v29, v31 offset1:10
	v_pack_b32_f16 v29, v40, v50
	v_pack_b32_f16 v31, v52, v36
	v_sub_f16_e32 v33, v49, v33
	v_sub_f16_e32 v38, v51, v38
	;; [unrolled: 1-line block ×7, first 2 shown]
	ds_write2_b32 v13, v29, v31 offset0:20 offset1:30
	v_pack_b32_f16 v29, v54, v44
	v_pack_b32_f16 v31, v32, v39
	ds_write2_b32 v13, v29, v31 offset0:40 offset1:50
	v_pack_b32_f16 v29, v33, v37
	v_pack_b32_f16 v30, v38, v30
	;; [unrolled: 1-line block ×4, first 2 shown]
	ds_write2_b32 v13, v29, v30 offset0:60 offset1:70
	ds_write2_b32 v13, v26, v27 offset0:80 offset1:90
	s_waitcnt lgkmcnt(0)
	; wave barrier
	s_waitcnt lgkmcnt(0)
	global_load_dword v28, v24, s[0:1] offset:400
	global_load_dword v30, v24, s[6:7] offset:40
	;; [unrolled: 1-line block ×10, first 2 shown]
	ds_read2_b32 v[26:27], v13 offset1:10
	s_mov_b32 s1, 0xb4f2
	s_mov_b32 s0, 0xba79
	s_movk_i32 s6, 0x1ff
	s_movk_i32 s7, 0xffe
	s_waitcnt lgkmcnt(0)
	v_lshrrev_b32_e32 v24, 16, v26
	s_waitcnt vmcnt(9)
	v_mul_f16_sdwa v29, v24, v28 dst_sel:DWORD dst_unused:UNUSED_PAD src0_sel:DWORD src1_sel:WORD_1
	v_fma_f16 v29, v26, v28, -v29
	v_mul_f16_sdwa v26, v26, v28 dst_sel:DWORD dst_unused:UNUSED_PAD src0_sel:DWORD src1_sel:WORD_1
	v_fma_f16 v24, v24, v28, v26
	v_lshrrev_b32_e32 v26, 16, v27
	s_waitcnt vmcnt(8)
	v_mul_f16_sdwa v28, v26, v30 dst_sel:DWORD dst_unused:UNUSED_PAD src0_sel:DWORD src1_sel:WORD_1
	v_pack_b32_f16 v24, v29, v24
	v_fma_f16 v39, v27, v30, -v28
	ds_read2_b32 v[28:29], v13 offset0:20 offset1:30
	v_mul_f16_sdwa v27, v27, v30 dst_sel:DWORD dst_unused:UNUSED_PAD src0_sel:DWORD src1_sel:WORD_1
	v_fma_f16 v26, v26, v30, v27
	v_pack_b32_f16 v26, v39, v26
	ds_write2_b32 v13, v24, v26 offset1:10
	s_waitcnt lgkmcnt(1)
	v_lshrrev_b32_e32 v24, 16, v28
	s_waitcnt vmcnt(7)
	v_mul_f16_sdwa v26, v24, v31 dst_sel:DWORD dst_unused:UNUSED_PAD src0_sel:DWORD src1_sel:WORD_1
	v_mul_f16_sdwa v27, v28, v31 dst_sel:DWORD dst_unused:UNUSED_PAD src0_sel:DWORD src1_sel:WORD_1
	v_fma_f16 v26, v28, v31, -v26
	v_fma_f16 v24, v24, v31, v27
	v_lshrrev_b32_e32 v28, 16, v29
	v_pack_b32_f16 v24, v26, v24
	s_waitcnt vmcnt(6)
	v_mul_f16_sdwa v26, v28, v32 dst_sel:DWORD dst_unused:UNUSED_PAD src0_sel:DWORD src1_sel:WORD_1
	v_fma_f16 v30, v29, v32, -v26
	ds_read2_b32 v[26:27], v13 offset0:40 offset1:50
	v_mul_f16_sdwa v29, v29, v32 dst_sel:DWORD dst_unused:UNUSED_PAD src0_sel:DWORD src1_sel:WORD_1
	v_fma_f16 v28, v28, v32, v29
	v_pack_b32_f16 v28, v30, v28
	ds_write2_b32 v13, v24, v28 offset0:20 offset1:30
	s_waitcnt lgkmcnt(1)
	v_lshrrev_b32_e32 v24, 16, v26
	s_waitcnt vmcnt(5)
	v_mul_f16_sdwa v28, v24, v33 dst_sel:DWORD dst_unused:UNUSED_PAD src0_sel:DWORD src1_sel:WORD_1
	v_fma_f16 v28, v26, v33, -v28
	v_mul_f16_sdwa v26, v26, v33 dst_sel:DWORD dst_unused:UNUSED_PAD src0_sel:DWORD src1_sel:WORD_1
	v_fma_f16 v24, v24, v33, v26
	v_lshrrev_b32_e32 v26, 16, v27
	v_pack_b32_f16 v24, v28, v24
	s_waitcnt vmcnt(4)
	v_mul_f16_sdwa v28, v26, v34 dst_sel:DWORD dst_unused:UNUSED_PAD src0_sel:DWORD src1_sel:WORD_1
	v_fma_f16 v30, v27, v34, -v28
	ds_read2_b32 v[28:29], v13 offset0:60 offset1:70
	v_mul_f16_sdwa v27, v27, v34 dst_sel:DWORD dst_unused:UNUSED_PAD src0_sel:DWORD src1_sel:WORD_1
	v_fma_f16 v26, v26, v34, v27
	v_pack_b32_f16 v26, v30, v26
	ds_write2_b32 v13, v24, v26 offset0:40 offset1:50
	s_waitcnt lgkmcnt(1)
	v_lshrrev_b32_e32 v24, 16, v28
	s_waitcnt vmcnt(3)
	v_mul_f16_sdwa v26, v24, v35 dst_sel:DWORD dst_unused:UNUSED_PAD src0_sel:DWORD src1_sel:WORD_1
	v_mul_f16_sdwa v27, v28, v35 dst_sel:DWORD dst_unused:UNUSED_PAD src0_sel:DWORD src1_sel:WORD_1
	v_fma_f16 v26, v28, v35, -v26
	v_fma_f16 v24, v24, v35, v27
	v_lshrrev_b32_e32 v28, 16, v29
	v_pack_b32_f16 v24, v26, v24
	s_waitcnt vmcnt(2)
	v_mul_f16_sdwa v26, v28, v36 dst_sel:DWORD dst_unused:UNUSED_PAD src0_sel:DWORD src1_sel:WORD_1
	v_fma_f16 v30, v29, v36, -v26
	ds_read2_b32 v[26:27], v13 offset0:80 offset1:90
	v_mul_f16_sdwa v29, v29, v36 dst_sel:DWORD dst_unused:UNUSED_PAD src0_sel:DWORD src1_sel:WORD_1
	v_fma_f16 v28, v28, v36, v29
	v_pack_b32_f16 v28, v30, v28
	ds_write2_b32 v13, v24, v28 offset0:60 offset1:70
	s_waitcnt lgkmcnt(1)
	v_lshrrev_b32_e32 v24, 16, v26
	s_waitcnt vmcnt(1)
	v_mul_f16_sdwa v28, v24, v37 dst_sel:DWORD dst_unused:UNUSED_PAD src0_sel:DWORD src1_sel:WORD_1
	v_fma_f16 v28, v26, v37, -v28
	v_mul_f16_sdwa v26, v26, v37 dst_sel:DWORD dst_unused:UNUSED_PAD src0_sel:DWORD src1_sel:WORD_1
	v_fma_f16 v24, v24, v37, v26
	v_lshrrev_b32_e32 v26, 16, v27
	v_pack_b32_f16 v24, v28, v24
	s_waitcnt vmcnt(0)
	v_mul_f16_sdwa v28, v26, v38 dst_sel:DWORD dst_unused:UNUSED_PAD src0_sel:DWORD src1_sel:WORD_1
	v_fma_f16 v28, v27, v38, -v28
	v_mul_f16_sdwa v27, v27, v38 dst_sel:DWORD dst_unused:UNUSED_PAD src0_sel:DWORD src1_sel:WORD_1
	v_fma_f16 v26, v26, v38, v27
	v_pack_b32_f16 v26, v28, v26
	ds_write2_b32 v13, v24, v26 offset0:80 offset1:90
	s_waitcnt lgkmcnt(0)
	; wave barrier
	s_waitcnt lgkmcnt(0)
	ds_read2_b32 v[26:27], v13 offset1:10
	ds_read2_b32 v[28:29], v13 offset0:40 offset1:50
	ds_read2_b32 v[30:31], v13 offset0:60 offset1:70
	;; [unrolled: 1-line block ×4, first 2 shown]
	s_waitcnt lgkmcnt(0)
	; wave barrier
	s_waitcnt lgkmcnt(0)
	v_add_f16_e32 v24, v28, v30
	v_fma_f16 v24, v24, -0.5, v26
	v_sub_f16_sdwa v36, v32, v34 dst_sel:DWORD dst_unused:UNUSED_PAD src0_sel:WORD_1 src1_sel:WORD_1
	v_fma_f16 v37, v36, s16, v24
	v_sub_f16_sdwa v38, v28, v30 dst_sel:DWORD dst_unused:UNUSED_PAD src0_sel:WORD_1 src1_sel:WORD_1
	v_sub_f16_e32 v39, v34, v30
	v_sub_f16_e32 v40, v32, v28
	v_fma_f16 v24, v36, s12, v24
	v_fma_f16 v37, v38, s15, v37
	v_add_f16_e32 v39, v40, v39
	v_fma_f16 v24, v38, s13, v24
	v_fma_f16 v37, v39, s14, v37
	;; [unrolled: 1-line block ×3, first 2 shown]
	v_add_f16_e32 v39, v32, v34
	v_fma_f16 v39, v39, -0.5, v26
	v_fma_f16 v40, v38, s12, v39
	v_sub_f16_e32 v41, v30, v34
	v_sub_f16_e32 v42, v28, v32
	v_fma_f16 v38, v38, s16, v39
	v_fma_f16 v40, v36, s15, v40
	v_add_f16_e32 v41, v42, v41
	v_fma_f16 v36, v36, s13, v38
	v_pk_add_f16 v38, v26, v32
	v_add_f16_sdwa v39, v28, v30 dst_sel:DWORD dst_unused:UNUSED_PAD src0_sel:WORD_1 src1_sel:WORD_1
	v_lshrrev_b32_e32 v26, 16, v26
	v_fma_f16 v40, v41, s14, v40
	v_fma_f16 v36, v41, s14, v36
	v_fma_f16 v39, v39, -0.5, v26
	v_sub_f16_e32 v41, v32, v34
	v_fma_f16 v42, v41, s12, v39
	v_sub_f16_e32 v43, v28, v30
	v_sub_f16_sdwa v44, v32, v28 dst_sel:DWORD dst_unused:UNUSED_PAD src0_sel:WORD_1 src1_sel:WORD_1
	v_sub_f16_sdwa v45, v34, v30 dst_sel:DWORD dst_unused:UNUSED_PAD src0_sel:WORD_1 src1_sel:WORD_1
	v_fma_f16 v39, v41, s16, v39
	v_fma_f16 v42, v43, s13, v42
	v_add_f16_e32 v44, v44, v45
	v_fma_f16 v39, v43, s15, v39
	v_fma_f16 v42, v44, s14, v42
	;; [unrolled: 1-line block ×3, first 2 shown]
	v_add_f16_sdwa v44, v32, v34 dst_sel:DWORD dst_unused:UNUSED_PAD src0_sel:WORD_1 src1_sel:WORD_1
	v_pk_add_f16 v38, v38, v28
	v_fma_f16 v26, v44, -0.5, v26
	v_pk_add_f16 v38, v38, v30
	v_fma_f16 v44, v43, s16, v26
	v_sub_f16_sdwa v28, v28, v32 dst_sel:DWORD dst_unused:UNUSED_PAD src0_sel:WORD_1 src1_sel:WORD_1
	v_sub_f16_sdwa v30, v30, v34 dst_sel:DWORD dst_unused:UNUSED_PAD src0_sel:WORD_1 src1_sel:WORD_1
	v_fma_f16 v26, v43, s12, v26
	v_fma_f16 v44, v41, s13, v44
	v_add_f16_e32 v28, v28, v30
	v_fma_f16 v26, v41, s15, v26
	v_fma_f16 v30, v28, s14, v44
	;; [unrolled: 1-line block ×3, first 2 shown]
	v_add_f16_e32 v26, v29, v31
	v_fma_f16 v26, v26, -0.5, v27
	v_sub_f16_sdwa v32, v33, v35 dst_sel:DWORD dst_unused:UNUSED_PAD src0_sel:WORD_1 src1_sel:WORD_1
	v_pk_add_f16 v38, v38, v34
	v_fma_f16 v34, v32, s16, v26
	v_sub_f16_sdwa v41, v29, v31 dst_sel:DWORD dst_unused:UNUSED_PAD src0_sel:WORD_1 src1_sel:WORD_1
	v_sub_f16_e32 v43, v35, v31
	v_sub_f16_e32 v44, v33, v29
	v_fma_f16 v26, v32, s12, v26
	v_fma_f16 v34, v41, s15, v34
	v_add_f16_e32 v43, v44, v43
	v_fma_f16 v26, v41, s13, v26
	v_fma_f16 v34, v43, s14, v34
	v_fma_f16 v43, v43, s14, v26
	v_add_f16_e32 v26, v33, v35
	v_fma_f16 v26, v26, -0.5, v27
	v_fma_f16 v44, v41, s12, v26
	v_sub_f16_e32 v45, v31, v35
	v_sub_f16_e32 v46, v29, v33
	v_fma_f16 v26, v41, s16, v26
	v_add_f16_e32 v45, v46, v45
	v_fma_f16 v26, v32, s13, v26
	v_fma_f16 v44, v32, s15, v44
	;; [unrolled: 1-line block ×3, first 2 shown]
	v_pk_add_f16 v26, v27, v33
	v_pk_add_f16 v26, v26, v29
	;; [unrolled: 1-line block ×4, first 2 shown]
	v_add_f16_sdwa v26, v29, v31 dst_sel:DWORD dst_unused:UNUSED_PAD src0_sel:WORD_1 src1_sel:WORD_1
	v_lshrrev_b32_e32 v27, 16, v27
	v_fma_f16 v44, v45, s14, v44
	v_fma_f16 v26, v26, -0.5, v27
	v_sub_f16_e32 v45, v33, v35
	v_fma_f16 v46, v45, s12, v26
	v_sub_f16_e32 v47, v29, v31
	v_sub_f16_sdwa v48, v33, v29 dst_sel:DWORD dst_unused:UNUSED_PAD src0_sel:WORD_1 src1_sel:WORD_1
	v_sub_f16_sdwa v49, v35, v31 dst_sel:DWORD dst_unused:UNUSED_PAD src0_sel:WORD_1 src1_sel:WORD_1
	v_fma_f16 v26, v45, s16, v26
	v_fma_f16 v46, v47, s13, v46
	v_add_f16_e32 v48, v48, v49
	v_fma_f16 v26, v47, s15, v26
	v_fma_f16 v46, v48, s14, v46
	;; [unrolled: 1-line block ×3, first 2 shown]
	v_add_f16_sdwa v26, v33, v35 dst_sel:DWORD dst_unused:UNUSED_PAD src0_sel:WORD_1 src1_sel:WORD_1
	v_fma_f16 v26, v26, -0.5, v27
	v_fma_f16 v27, v47, s16, v26
	v_sub_f16_sdwa v29, v29, v33 dst_sel:DWORD dst_unused:UNUSED_PAD src0_sel:WORD_1 src1_sel:WORD_1
	v_sub_f16_sdwa v31, v31, v35 dst_sel:DWORD dst_unused:UNUSED_PAD src0_sel:WORD_1 src1_sel:WORD_1
	v_fma_f16 v26, v47, s12, v26
	v_fma_f16 v27, v45, s13, v27
	v_add_f16_e32 v29, v29, v31
	v_fma_f16 v26, v45, s15, v26
	v_fma_f16 v27, v29, s14, v27
	;; [unrolled: 1-line block ×3, first 2 shown]
	v_mul_f16_e32 v26, 0xb8b4, v46
	v_fma_f16 v31, v34, s17, v26
	v_mul_f16_e32 v26, 0xbb9c, v27
	v_fma_f16 v35, v44, s14, v26
	v_mul_f16_e32 v26, 0xbb9c, v29
	v_mul_f16_e32 v34, 0x38b4, v34
	;; [unrolled: 1-line block ×4, first 2 shown]
	v_fma_f16 v47, v32, s1, v26
	v_mul_f16_e32 v26, 0xb8b4, v48
	v_fma_f16 v34, v46, s17, v34
	v_fma_f16 v27, v44, s12, v27
	;; [unrolled: 1-line block ×3, first 2 shown]
	v_mul_f16_e32 v48, 0xba79, v48
	v_add_f16_e32 v33, v37, v31
	v_add_f16_e32 v45, v40, v35
	;; [unrolled: 1-line block ×3, first 2 shown]
	v_fma_f16 v50, v43, s0, v26
	v_add_f16_e32 v46, v42, v34
	v_add_f16_e32 v44, v30, v27
	v_add_f16_e32 v32, v28, v29
	v_fma_f16 v43, v43, s13, v48
	v_add_f16_e32 v51, v24, v50
	v_pk_add_f16 v26, v38, v41
	v_add_f16_e32 v48, v39, v43
	v_sub_f16_e32 v31, v37, v31
	v_sub_f16_e32 v35, v40, v35
	;; [unrolled: 1-line block ×5, first 2 shown]
	v_pack_b32_f16 v29, v49, v32
	v_pack_b32_f16 v28, v45, v44
	;; [unrolled: 1-line block ×3, first 2 shown]
	v_sub_f16_e32 v36, v36, v47
	v_sub_f16_e32 v24, v24, v50
	;; [unrolled: 1-line block ×3, first 2 shown]
	ds_write2_b64 v23, v[26:27], v[28:29] offset1:1
	v_pk_add_f16 v27, v38, v41 neg_lo:[0,1] neg_hi:[0,1]
	v_pack_b32_f16 v29, v35, v30
	v_pack_b32_f16 v28, v31, v34
	v_pack_b32_f16 v26, v51, v48
	ds_write2_b64 v23, v[26:27], v[28:29] offset0:2 offset1:3
	v_pack_b32_f16 v27, v24, v39
	v_pack_b32_f16 v26, v36, v37
	ds_write_b64 v23, v[26:27] offset:32
	s_waitcnt lgkmcnt(0)
	; wave barrier
	s_waitcnt lgkmcnt(0)
	ds_read2_b32 v[23:24], v13 offset1:10
	ds_read2_b32 v[26:27], v13 offset0:20 offset1:30
	ds_read2_b32 v[28:29], v13 offset0:40 offset1:50
	;; [unrolled: 1-line block ×4, first 2 shown]
	s_waitcnt lgkmcnt(4)
	v_lshrrev_b32_e32 v35, 16, v24
	v_mul_f16_sdwa v44, v0, v35 dst_sel:DWORD dst_unused:UNUSED_PAD src0_sel:WORD_1 src1_sel:DWORD
	s_waitcnt lgkmcnt(3)
	v_lshrrev_b32_e32 v36, 16, v26
	v_fma_f16 v44, v0, v24, v44
	v_mul_f16_sdwa v24, v0, v24 dst_sel:DWORD dst_unused:UNUSED_PAD src0_sel:WORD_1 src1_sel:DWORD
	v_fma_f16 v0, v0, v35, -v24
	v_mul_f16_sdwa v24, v1, v36 dst_sel:DWORD dst_unused:UNUSED_PAD src0_sel:WORD_1 src1_sel:DWORD
	v_lshrrev_b32_e32 v37, 16, v27
	v_fma_f16 v24, v1, v26, v24
	v_mul_f16_sdwa v26, v1, v26 dst_sel:DWORD dst_unused:UNUSED_PAD src0_sel:WORD_1 src1_sel:DWORD
	v_fma_f16 v1, v1, v36, -v26
	v_mul_f16_sdwa v26, v2, v37 dst_sel:DWORD dst_unused:UNUSED_PAD src0_sel:WORD_1 src1_sel:DWORD
	s_waitcnt lgkmcnt(2)
	v_lshrrev_b32_e32 v38, 16, v28
	v_fma_f16 v26, v2, v27, v26
	v_mul_f16_sdwa v27, v2, v27 dst_sel:DWORD dst_unused:UNUSED_PAD src0_sel:WORD_1 src1_sel:DWORD
	v_fma_f16 v2, v2, v37, -v27
	v_mul_f16_sdwa v27, v3, v38 dst_sel:DWORD dst_unused:UNUSED_PAD src0_sel:WORD_1 src1_sel:DWORD
	v_lshrrev_b32_e32 v39, 16, v29
	v_fma_f16 v27, v3, v28, v27
	v_mul_f16_sdwa v28, v3, v28 dst_sel:DWORD dst_unused:UNUSED_PAD src0_sel:WORD_1 src1_sel:DWORD
	v_fma_f16 v3, v3, v38, -v28
	;; [unrolled: 11-line block ×3, first 2 shown]
	v_mul_f16_sdwa v30, v6, v41 dst_sel:DWORD dst_unused:UNUSED_PAD src0_sel:WORD_1 src1_sel:DWORD
	s_waitcnt lgkmcnt(0)
	v_lshrrev_b32_e32 v42, 16, v32
	v_fma_f16 v30, v6, v31, v30
	v_mul_f16_sdwa v31, v6, v31 dst_sel:DWORD dst_unused:UNUSED_PAD src0_sel:WORD_1 src1_sel:DWORD
	v_fma_f16 v6, v6, v41, -v31
	v_mul_f16_sdwa v31, v7, v42 dst_sel:DWORD dst_unused:UNUSED_PAD src0_sel:WORD_1 src1_sel:DWORD
	v_fma_f16 v31, v7, v32, v31
	v_mul_f16_sdwa v32, v7, v32 dst_sel:DWORD dst_unused:UNUSED_PAD src0_sel:WORD_1 src1_sel:DWORD
	v_fma_f16 v7, v7, v42, -v32
	v_add_f16_e32 v35, v27, v29
	v_fma_f16 v35, v35, -0.5, v23
	v_sub_f16_e32 v36, v1, v7
	v_lshrrev_b32_e32 v43, 16, v33
	v_fma_f16 v37, v36, s16, v35
	v_sub_f16_e32 v38, v3, v5
	v_sub_f16_e32 v39, v24, v27
	;; [unrolled: 1-line block ×3, first 2 shown]
	v_fma_f16 v35, v36, s12, v35
	v_mul_f16_sdwa v32, v25, v43 dst_sel:DWORD dst_unused:UNUSED_PAD src0_sel:WORD_1 src1_sel:DWORD
	v_fma_f16 v37, v38, s15, v37
	v_add_f16_e32 v39, v39, v40
	v_fma_f16 v35, v38, s13, v35
	v_fma_f16 v32, v25, v33, v32
	v_mul_f16_sdwa v33, v25, v33 dst_sel:DWORD dst_unused:UNUSED_PAD src0_sel:WORD_1 src1_sel:DWORD
	v_fma_f16 v37, v39, s14, v37
	v_fma_f16 v35, v39, s14, v35
	v_add_f16_e32 v39, v24, v31
	v_lshrrev_b32_e32 v34, 16, v23
	v_fma_f16 v25, v25, v43, -v33
	v_add_f16_e32 v33, v23, v24
	v_fma_f16 v23, v39, -0.5, v23
	v_add_f16_e32 v33, v33, v27
	v_fma_f16 v39, v38, s12, v23
	v_fma_f16 v23, v38, s16, v23
	v_add_f16_e32 v38, v3, v5
	v_add_f16_e32 v33, v33, v29
	v_sub_f16_e32 v40, v27, v24
	v_sub_f16_e32 v41, v29, v31
	v_fma_f16 v38, v38, -0.5, v34
	v_sub_f16_e32 v24, v24, v31
	v_add_f16_e32 v33, v33, v31
	v_fma_f16 v39, v36, s15, v39
	v_add_f16_e32 v40, v40, v41
	v_fma_f16 v23, v36, s13, v23
	v_fma_f16 v31, v24, s12, v38
	v_sub_f16_e32 v27, v27, v29
	v_fma_f16 v39, v40, s14, v39
	v_fma_f16 v23, v40, s14, v23
	;; [unrolled: 1-line block ×3, first 2 shown]
	v_sub_f16_e32 v31, v1, v3
	v_sub_f16_e32 v40, v7, v5
	v_fma_f16 v38, v24, s16, v38
	v_add_f16_e32 v36, v34, v1
	v_add_f16_e32 v31, v31, v40
	v_fma_f16 v38, v27, s15, v38
	v_add_f16_e32 v36, v36, v3
	v_fma_f16 v29, v31, s14, v29
	v_fma_f16 v31, v31, s14, v38
	v_add_f16_e32 v38, v1, v7
	v_add_f16_e32 v36, v36, v5
	v_fma_f16 v34, v38, -0.5, v34
	v_add_f16_e32 v36, v36, v7
	v_fma_f16 v38, v27, s16, v34
	v_sub_f16_e32 v1, v3, v1
	v_sub_f16_e32 v3, v5, v7
	v_fma_f16 v5, v27, s12, v34
	v_add_f16_e32 v7, v28, v30
	v_fma_f16 v38, v24, s13, v38
	v_add_f16_e32 v1, v1, v3
	v_fma_f16 v5, v24, s15, v5
	v_fma_f16 v7, v7, -0.5, v44
	v_sub_f16_e32 v24, v2, v25
	v_fma_f16 v3, v1, s14, v38
	v_fma_f16 v27, v24, s16, v7
	v_sub_f16_e32 v34, v4, v6
	v_sub_f16_e32 v38, v26, v28
	;; [unrolled: 1-line block ×3, first 2 shown]
	v_fma_f16 v7, v24, s12, v7
	v_fma_f16 v27, v34, s15, v27
	v_add_f16_e32 v38, v38, v40
	v_fma_f16 v7, v34, s13, v7
	v_fma_f16 v27, v38, s14, v27
	;; [unrolled: 1-line block ×3, first 2 shown]
	v_add_f16_e32 v38, v26, v32
	v_fma_f16 v1, v1, s14, v5
	v_add_f16_e32 v5, v44, v26
	v_fma_f16 v38, v38, -0.5, v44
	v_add_f16_e32 v5, v5, v28
	v_fma_f16 v40, v34, s12, v38
	v_fma_f16 v34, v34, s16, v38
	v_add_f16_e32 v38, v4, v6
	v_add_f16_e32 v5, v5, v30
	v_sub_f16_e32 v41, v28, v26
	v_sub_f16_e32 v42, v30, v32
	v_fma_f16 v38, v38, -0.5, v0
	v_sub_f16_e32 v26, v26, v32
	v_add_f16_e32 v5, v5, v32
	v_fma_f16 v40, v24, s15, v40
	v_add_f16_e32 v41, v41, v42
	v_fma_f16 v24, v24, s13, v34
	v_fma_f16 v32, v26, s12, v38
	v_sub_f16_e32 v28, v28, v30
	v_fma_f16 v40, v41, s14, v40
	v_fma_f16 v24, v41, s14, v24
	;; [unrolled: 1-line block ×3, first 2 shown]
	v_sub_f16_e32 v32, v2, v4
	v_sub_f16_e32 v41, v25, v6
	v_fma_f16 v38, v26, s16, v38
	v_add_f16_e32 v32, v32, v41
	v_fma_f16 v38, v28, s15, v38
	v_fma_f16 v30, v32, s14, v30
	;; [unrolled: 1-line block ×3, first 2 shown]
	v_add_f16_e32 v38, v2, v25
	v_add_f16_e32 v34, v0, v2
	v_fma_f16 v0, v38, -0.5, v0
	v_add_f16_e32 v34, v34, v4
	v_fma_f16 v38, v28, s16, v0
	v_sub_f16_e32 v2, v4, v2
	v_sub_f16_e32 v4, v6, v25
	v_fma_f16 v0, v28, s12, v0
	v_fma_f16 v38, v26, s13, v38
	v_add_f16_e32 v2, v2, v4
	v_fma_f16 v0, v26, s15, v0
	v_add_f16_e32 v34, v34, v6
	v_fma_f16 v4, v2, s14, v38
	v_fma_f16 v0, v2, s14, v0
	v_mul_f16_e32 v6, 0xb8b4, v30
	v_mul_f16_e32 v30, 0x3a79, v30
	v_add_f16_e32 v34, v34, v25
	v_fma_f16 v6, v27, s17, v6
	v_mul_f16_e32 v26, 0xbb9c, v4
	v_mul_f16_e32 v38, 0xbb9c, v0
	v_fma_f16 v27, v27, s13, v30
	v_mul_f16_e32 v4, 0x34f2, v4
	v_mul_f16_e32 v0, 0xb4f2, v0
	v_add_f16_e32 v2, v33, v5
	v_add_f16_e32 v25, v37, v6
	v_fma_f16 v26, v40, s14, v26
	v_fma_f16 v38, v24, s1, v38
	v_mul_f16_e32 v42, 0xb8b4, v32
	v_add_f16_e32 v44, v36, v34
	v_add_f16_e32 v30, v29, v27
	v_fma_f16 v4, v40, s12, v4
	v_fma_f16 v0, v24, s12, v0
	v_mul_f16_e32 v32, 0xba79, v32
	v_add_f16_e32 v28, v39, v26
	v_add_f16_e32 v41, v23, v38
	v_fma_f16 v42, v7, s0, v42
	v_add_f16_e32 v40, v3, v4
	v_add_f16_e32 v24, v1, v0
	v_fma_f16 v7, v7, s13, v32
	v_sub_f16_e32 v3, v3, v4
	v_pack_b32_f16 v2, v2, v44
	v_pack_b32_f16 v4, v25, v30
	v_add_f16_e32 v43, v35, v42
	v_add_f16_e32 v32, v31, v7
	v_sub_f16_e32 v5, v33, v5
	v_sub_f16_e32 v34, v36, v34
	ds_write2_b32 v13, v2, v4 offset1:10
	v_pack_b32_f16 v2, v28, v40
	v_pack_b32_f16 v4, v41, v24
	v_sub_f16_e32 v6, v37, v6
	v_sub_f16_e32 v26, v39, v26
	;; [unrolled: 1-line block ×7, first 2 shown]
	ds_write2_b32 v13, v2, v4 offset0:20 offset1:30
	v_pack_b32_f16 v2, v43, v32
	v_pack_b32_f16 v4, v5, v34
	ds_write2_b32 v13, v2, v4 offset0:40 offset1:50
	v_pack_b32_f16 v2, v6, v27
	v_pack_b32_f16 v3, v26, v3
	v_pack_b32_f16 v0, v23, v0
	v_pack_b32_f16 v1, v33, v1
	ds_write2_b32 v13, v2, v3 offset0:60 offset1:70
	ds_write2_b32 v13, v0, v1 offset0:80 offset1:90
	s_waitcnt lgkmcnt(0)
	; wave barrier
	s_waitcnt lgkmcnt(0)
	ds_read2_b32 v[2:3], v13 offset1:10
	v_mad_u64_u32 v[4:5], s[0:1], s10, v8, 0
	s_movk_i32 s10, 0x40f
	s_waitcnt lgkmcnt(0)
	v_lshrrev_b32_e32 v7, 16, v2
	v_mul_f16_sdwa v0, v22, v7 dst_sel:DWORD dst_unused:UNUSED_PAD src0_sel:WORD_1 src1_sel:DWORD
	v_fma_f16 v0, v22, v2, v0
	v_cvt_f32_f16_e32 v0, v0
	v_mad_u64_u32 v[5:6], s[0:1], s11, v8, v[5:6]
	v_mul_f16_sdwa v2, v22, v2 dst_sel:DWORD dst_unused:UNUSED_PAD src0_sel:WORD_1 src1_sel:DWORD
	v_cvt_f64_f32_e32 v[0:1], v0
	v_fma_f16 v2, v22, v7, -v2
	v_cvt_f32_f16_e32 v2, v2
	s_mov_b32 s11, 0x8000
	v_mul_f64 v[0:1], v[0:1], s[2:3]
	v_lshlrev_b64 v[4:5], 2, v[4:5]
	v_and_or_b32 v0, v1, s6, v0
	v_cmp_ne_u32_e32 vcc, 0, v0
	v_cndmask_b32_e64 v0, 0, 1, vcc
	v_lshrrev_b32_e32 v6, 8, v1
	v_and_or_b32 v8, v6, s7, v0
	v_bfe_u32 v6, v1, 20, 11
	v_sub_u32_e32 v23, 0x3f1, v6
	v_or_b32_e32 v0, 0x1000, v8
	v_med3_i32 v23, v23, 0, 13
	v_lshrrev_b32_e32 v24, v23, v0
	v_lshlrev_b32_e32 v23, v23, v24
	v_cmp_ne_u32_e32 vcc, v23, v0
	v_cndmask_b32_e64 v0, 0, 1, vcc
	v_add_u32_e32 v23, 0xfffffc10, v6
	v_or_b32_e32 v0, v24, v0
	v_lshl_or_b32 v6, v23, 12, v8
	v_cmp_gt_i32_e32 vcc, 1, v23
	v_cndmask_b32_e32 v0, v6, v0, vcc
	v_and_b32_e32 v6, 7, v0
	v_cmp_lt_i32_e32 vcc, 5, v6
	v_cmp_eq_u32_e64 s[0:1], 3, v6
	v_cvt_f64_f32_e32 v[6:7], v2
	v_lshrrev_b32_e32 v0, 2, v0
	s_or_b64 vcc, s[0:1], vcc
	v_addc_co_u32_e32 v22, vcc, 0, v0, vcc
	v_mul_f64 v[6:7], v[6:7], s[2:3]
	v_mov_b32_e32 v0, 0x7c00
	v_cmp_gt_i32_e32 vcc, 31, v23
	v_cndmask_b32_e32 v2, v0, v22, vcc
	v_cmp_ne_u32_e32 vcc, 0, v8
	v_cndmask_b32_e64 v8, 0, 1, vcc
	v_lshl_or_b32 v8, v8, 9, v0
	v_cmp_eq_u32_e32 vcc, s10, v23
	v_cndmask_b32_e32 v2, v2, v8, vcc
	v_lshrrev_b32_e32 v1, 16, v1
	v_and_or_b32 v8, v1, s11, v2
	v_and_or_b32 v1, v7, s6, v6
	v_cmp_ne_u32_e32 vcc, 0, v1
	v_cndmask_b32_e64 v1, 0, 1, vcc
	v_lshrrev_b32_e32 v2, 8, v7
	v_bfe_u32 v6, v7, 20, 11
	v_and_or_b32 v1, v2, s7, v1
	v_sub_u32_e32 v22, 0x3f1, v6
	v_or_b32_e32 v2, 0x1000, v1
	v_med3_i32 v22, v22, 0, 13
	v_lshrrev_b32_e32 v23, v22, v2
	v_lshlrev_b32_e32 v22, v22, v23
	v_cmp_ne_u32_e32 vcc, v22, v2
	v_cndmask_b32_e64 v2, 0, 1, vcc
	v_add_u32_e32 v6, 0xfffffc10, v6
	v_or_b32_e32 v2, v23, v2
	v_lshl_or_b32 v22, v6, 12, v1
	v_cmp_gt_i32_e32 vcc, 1, v6
	v_cndmask_b32_e32 v2, v22, v2, vcc
	v_and_b32_e32 v22, 7, v2
	v_cmp_lt_i32_e32 vcc, 5, v22
	v_cmp_eq_u32_e64 s[0:1], 3, v22
	v_lshrrev_b32_e32 v2, 2, v2
	s_or_b64 vcc, s[0:1], vcc
	v_addc_co_u32_e32 v2, vcc, 0, v2, vcc
	v_cmp_gt_i32_e32 vcc, 31, v6
	v_mad_u64_u32 v[22:23], s[0:1], s8, v20, 0
	v_cndmask_b32_e32 v2, v0, v2, vcc
	v_cmp_ne_u32_e32 vcc, 0, v1
	v_cndmask_b32_e64 v1, 0, 1, vcc
	v_lshl_or_b32 v1, v1, 9, v0
	v_cmp_eq_u32_e32 vcc, s10, v6
	v_cndmask_b32_e32 v6, v2, v1, vcc
	v_mov_b32_e32 v1, v23
	v_mad_u64_u32 v[1:2], s[0:1], s9, v20, v[1:2]
	v_lshrrev_b32_e32 v20, 16, v3
	v_mul_f16_sdwa v2, v21, v20 dst_sel:DWORD dst_unused:UNUSED_PAD src0_sel:WORD_1 src1_sel:DWORD
	v_fma_f16 v2, v21, v3, v2
	v_cvt_f32_f16_e32 v2, v2
	v_mov_b32_e32 v23, v1
	v_lshrrev_b32_e32 v7, 16, v7
	v_and_or_b32 v6, v7, s11, v6
	v_cvt_f64_f32_e32 v[1:2], v2
	v_and_b32_e32 v7, 0xffff, v8
	v_lshl_or_b32 v8, v6, 16, v7
	v_mov_b32_e32 v24, s5
	v_mul_f64 v[6:7], v[1:2], s[2:3]
	v_add_co_u32_e32 v1, vcc, s4, v4
	v_addc_co_u32_e32 v2, vcc, v24, v5, vcc
	v_lshlrev_b64 v[4:5], 2, v[22:23]
	v_mul_f16_sdwa v3, v21, v3 dst_sel:DWORD dst_unused:UNUSED_PAD src0_sel:WORD_1 src1_sel:DWORD
	v_add_co_u32_e32 v4, vcc, v1, v4
	v_addc_co_u32_e32 v5, vcc, v2, v5, vcc
	v_and_or_b32 v6, v7, s6, v6
	v_cmp_ne_u32_e32 vcc, 0, v6
	global_store_dword v[4:5], v8, off
	v_cndmask_b32_e64 v6, 0, 1, vcc
	v_lshrrev_b32_e32 v8, 8, v7
	v_bfe_u32 v22, v7, 20, 11
	v_and_or_b32 v6, v8, s7, v6
	v_sub_u32_e32 v23, 0x3f1, v22
	v_fma_f16 v3, v21, v20, -v3
	v_or_b32_e32 v8, 0x1000, v6
	v_med3_i32 v23, v23, 0, 13
	v_cvt_f32_f16_e32 v3, v3
	v_lshrrev_b32_e32 v24, v23, v8
	v_lshlrev_b32_e32 v23, v23, v24
	v_cmp_ne_u32_e32 vcc, v23, v8
	v_cndmask_b32_e64 v8, 0, 1, vcc
	v_add_u32_e32 v22, 0xfffffc10, v22
	v_cvt_f64_f32_e32 v[20:21], v3
	v_or_b32_e32 v8, v24, v8
	v_lshl_or_b32 v23, v22, 12, v6
	v_cmp_gt_i32_e32 vcc, 1, v22
	v_cndmask_b32_e32 v8, v23, v8, vcc
	v_and_b32_e32 v23, 7, v8
	v_cmp_lt_i32_e32 vcc, 5, v23
	v_cmp_eq_u32_e64 s[0:1], 3, v23
	v_mul_f64 v[20:21], v[20:21], s[2:3]
	v_lshrrev_b32_e32 v8, 2, v8
	s_or_b64 vcc, s[0:1], vcc
	v_addc_co_u32_e32 v3, vcc, 0, v8, vcc
	v_cmp_gt_i32_e32 vcc, 31, v22
	v_cndmask_b32_e32 v3, v0, v3, vcc
	v_cmp_ne_u32_e32 vcc, 0, v6
	v_cndmask_b32_e64 v6, 0, 1, vcc
	v_lshl_or_b32 v6, v6, 9, v0
	v_cmp_eq_u32_e32 vcc, s10, v22
	v_cndmask_b32_e32 v3, v3, v6, vcc
	v_lshrrev_b32_e32 v6, 16, v7
	v_and_or_b32 v3, v6, s11, v3
	v_and_or_b32 v6, v21, s6, v20
	v_cmp_ne_u32_e32 vcc, 0, v6
	v_cndmask_b32_e64 v6, 0, 1, vcc
	v_lshrrev_b32_e32 v7, 8, v21
	v_bfe_u32 v8, v21, 20, 11
	v_and_or_b32 v6, v7, s7, v6
	v_sub_u32_e32 v20, 0x3f1, v8
	v_or_b32_e32 v7, 0x1000, v6
	v_med3_i32 v20, v20, 0, 13
	v_lshrrev_b32_e32 v22, v20, v7
	v_lshlrev_b32_e32 v20, v20, v22
	v_cmp_ne_u32_e32 vcc, v20, v7
	v_cndmask_b32_e64 v7, 0, 1, vcc
	v_add_u32_e32 v8, 0xfffffc10, v8
	v_or_b32_e32 v7, v22, v7
	v_lshl_or_b32 v20, v8, 12, v6
	v_cmp_gt_i32_e32 vcc, 1, v8
	v_cndmask_b32_e32 v7, v20, v7, vcc
	v_and_b32_e32 v20, 7, v7
	v_cmp_lt_i32_e32 vcc, 5, v20
	v_cmp_eq_u32_e64 s[0:1], 3, v20
	v_lshrrev_b32_e32 v7, 2, v7
	s_or_b64 vcc, s[0:1], vcc
	v_addc_co_u32_e32 v7, vcc, 0, v7, vcc
	v_cmp_gt_i32_e32 vcc, 31, v8
	v_cndmask_b32_e32 v20, v0, v7, vcc
	v_cmp_ne_u32_e32 vcc, 0, v6
	ds_read2_b32 v[6:7], v13 offset0:20 offset1:30
	v_cndmask_b32_e64 v22, 0, 1, vcc
	v_lshl_or_b32 v22, v22, 9, v0
	v_cmp_eq_u32_e32 vcc, s10, v8
	v_cndmask_b32_e32 v8, v20, v22, vcc
	s_waitcnt lgkmcnt(0)
	v_lshrrev_b32_e32 v22, 16, v6
	v_lshrrev_b32_e32 v20, 16, v21
	v_mul_f16_sdwa v21, v19, v22 dst_sel:DWORD dst_unused:UNUSED_PAD src0_sel:WORD_1 src1_sel:DWORD
	v_fma_f16 v21, v19, v6, v21
	v_cvt_f32_f16_e32 v21, v21
	v_and_or_b32 v8, v20, s11, v8
	s_mul_i32 s0, s9, 40
	s_mul_hi_u32 s4, s8, 40
	v_cvt_f64_f32_e32 v[20:21], v21
	v_and_b32_e32 v3, 0xffff, v3
	s_add_i32 s4, s4, s0
	s_mul_i32 s5, s8, 40
	v_mul_f64 v[20:21], v[20:21], s[2:3]
	v_lshl_or_b32 v8, v8, 16, v3
	v_mov_b32_e32 v23, s4
	v_add_co_u32_e32 v3, vcc, s5, v4
	v_addc_co_u32_e32 v4, vcc, v5, v23, vcc
	global_store_dword v[3:4], v8, off
	v_and_or_b32 v5, v21, s6, v20
	v_cmp_ne_u32_e32 vcc, 0, v5
	v_cndmask_b32_e64 v5, 0, 1, vcc
	v_lshrrev_b32_e32 v8, 8, v21
	v_bfe_u32 v20, v21, 20, 11
	v_and_or_b32 v8, v8, s7, v5
	v_sub_u32_e32 v23, 0x3f1, v20
	v_or_b32_e32 v5, 0x1000, v8
	v_med3_i32 v23, v23, 0, 13
	v_lshrrev_b32_e32 v24, v23, v5
	v_mul_f16_sdwa v6, v19, v6 dst_sel:DWORD dst_unused:UNUSED_PAD src0_sel:WORD_1 src1_sel:DWORD
	v_lshlrev_b32_e32 v23, v23, v24
	v_fma_f16 v6, v19, v22, -v6
	v_cmp_ne_u32_e32 vcc, v23, v5
	v_cvt_f32_f16_e32 v6, v6
	v_cndmask_b32_e64 v5, 0, 1, vcc
	v_add_u32_e32 v20, 0xfffffc10, v20
	v_or_b32_e32 v5, v24, v5
	v_lshl_or_b32 v23, v20, 12, v8
	v_cmp_gt_i32_e32 vcc, 1, v20
	v_cndmask_b32_e32 v5, v23, v5, vcc
	v_and_b32_e32 v23, 7, v5
	v_lshrrev_b32_e32 v19, 2, v5
	v_cvt_f64_f32_e32 v[5:6], v6
	v_cmp_lt_i32_e32 vcc, 5, v23
	v_cmp_eq_u32_e64 s[0:1], 3, v23
	s_or_b64 vcc, s[0:1], vcc
	v_mul_f64 v[5:6], v[5:6], s[2:3]
	v_addc_co_u32_e32 v19, vcc, 0, v19, vcc
	v_cmp_gt_i32_e32 vcc, 31, v20
	v_cndmask_b32_e32 v19, v0, v19, vcc
	v_cmp_ne_u32_e32 vcc, 0, v8
	v_cndmask_b32_e64 v8, 0, 1, vcc
	v_lshl_or_b32 v8, v8, 9, v0
	v_cmp_eq_u32_e32 vcc, s10, v20
	v_and_or_b32 v5, v6, s6, v5
	v_cndmask_b32_e32 v8, v19, v8, vcc
	v_lshrrev_b32_e32 v19, 16, v21
	v_cmp_ne_u32_e32 vcc, 0, v5
	v_and_or_b32 v8, v19, s11, v8
	v_cndmask_b32_e64 v5, 0, 1, vcc
	v_lshrrev_b32_e32 v19, 8, v6
	v_bfe_u32 v20, v6, 20, 11
	v_and_or_b32 v5, v19, s7, v5
	v_sub_u32_e32 v21, 0x3f1, v20
	v_or_b32_e32 v19, 0x1000, v5
	v_med3_i32 v21, v21, 0, 13
	v_lshrrev_b32_e32 v22, v21, v19
	v_lshlrev_b32_e32 v21, v21, v22
	v_cmp_ne_u32_e32 vcc, v21, v19
	v_cndmask_b32_e64 v19, 0, 1, vcc
	v_add_u32_e32 v20, 0xfffffc10, v20
	v_or_b32_e32 v19, v22, v19
	v_lshl_or_b32 v21, v20, 12, v5
	v_cmp_gt_i32_e32 vcc, 1, v20
	v_cndmask_b32_e32 v19, v21, v19, vcc
	v_and_b32_e32 v21, 7, v19
	v_cmp_lt_i32_e32 vcc, 5, v21
	v_cmp_eq_u32_e64 s[0:1], 3, v21
	v_lshrrev_b32_e32 v21, 16, v7
	v_lshrrev_b32_e32 v19, 2, v19
	s_or_b64 vcc, s[0:1], vcc
	v_mul_f16_sdwa v22, v18, v21 dst_sel:DWORD dst_unused:UNUSED_PAD src0_sel:WORD_1 src1_sel:DWORD
	v_addc_co_u32_e32 v19, vcc, 0, v19, vcc
	v_fma_f16 v22, v18, v7, v22
	v_cmp_gt_i32_e32 vcc, 31, v20
	v_cvt_f32_f16_e32 v22, v22
	v_cndmask_b32_e32 v19, v0, v19, vcc
	v_cmp_ne_u32_e32 vcc, 0, v5
	v_cndmask_b32_e64 v5, 0, 1, vcc
	v_lshl_or_b32 v5, v5, 9, v0
	v_cmp_eq_u32_e32 vcc, s10, v20
	v_cndmask_b32_e32 v5, v19, v5, vcc
	v_cvt_f64_f32_e32 v[19:20], v22
	v_lshrrev_b32_e32 v6, 16, v6
	v_and_or_b32 v22, v6, s11, v5
	v_add_co_u32_e32 v3, vcc, s5, v3
	v_mul_f64 v[5:6], v[19:20], s[2:3]
	v_mov_b32_e32 v19, s4
	v_and_b32_e32 v8, 0xffff, v8
	v_addc_co_u32_e32 v4, vcc, v4, v19, vcc
	v_lshl_or_b32 v8, v22, 16, v8
	global_store_dword v[3:4], v8, off
	v_mul_f16_sdwa v7, v18, v7 dst_sel:DWORD dst_unused:UNUSED_PAD src0_sel:WORD_1 src1_sel:DWORD
	v_and_or_b32 v5, v6, s6, v5
	v_cmp_ne_u32_e32 vcc, 0, v5
	v_cndmask_b32_e64 v5, 0, 1, vcc
	v_lshrrev_b32_e32 v8, 8, v6
	v_bfe_u32 v19, v6, 20, 11
	v_and_or_b32 v5, v8, s7, v5
	v_sub_u32_e32 v20, 0x3f1, v19
	v_or_b32_e32 v8, 0x1000, v5
	v_med3_i32 v20, v20, 0, 13
	v_lshrrev_b32_e32 v22, v20, v8
	v_lshlrev_b32_e32 v20, v20, v22
	v_fma_f16 v7, v18, v21, -v7
	v_cmp_ne_u32_e32 vcc, v20, v8
	v_cvt_f32_f16_e32 v7, v7
	v_cndmask_b32_e64 v8, 0, 1, vcc
	v_add_u32_e32 v19, 0xfffffc10, v19
	v_or_b32_e32 v8, v22, v8
	v_lshl_or_b32 v20, v19, 12, v5
	v_cmp_gt_i32_e32 vcc, 1, v19
	v_cndmask_b32_e32 v8, v20, v8, vcc
	v_and_b32_e32 v20, 7, v8
	v_lshrrev_b32_e32 v18, 2, v8
	v_cvt_f64_f32_e32 v[7:8], v7
	v_cmp_lt_i32_e32 vcc, 5, v20
	v_cmp_eq_u32_e64 s[0:1], 3, v20
	s_or_b64 vcc, s[0:1], vcc
	v_mul_f64 v[7:8], v[7:8], s[2:3]
	v_addc_co_u32_e32 v18, vcc, 0, v18, vcc
	v_cmp_gt_i32_e32 vcc, 31, v19
	v_cndmask_b32_e32 v18, v0, v18, vcc
	v_cmp_ne_u32_e32 vcc, 0, v5
	v_cndmask_b32_e64 v5, 0, 1, vcc
	v_lshl_or_b32 v5, v5, 9, v0
	v_cmp_eq_u32_e32 vcc, s10, v19
	v_cndmask_b32_e32 v5, v18, v5, vcc
	v_lshrrev_b32_e32 v6, 16, v6
	v_and_or_b32 v20, v6, s11, v5
	v_and_or_b32 v5, v8, s6, v7
	v_cmp_ne_u32_e32 vcc, 0, v5
	v_cndmask_b32_e64 v5, 0, 1, vcc
	v_lshrrev_b32_e32 v6, 8, v8
	v_and_or_b32 v7, v6, s7, v5
	v_bfe_u32 v6, v8, 20, 11
	v_sub_u32_e32 v18, 0x3f1, v6
	v_or_b32_e32 v5, 0x1000, v7
	v_med3_i32 v18, v18, 0, 13
	v_lshrrev_b32_e32 v19, v18, v5
	v_lshlrev_b32_e32 v18, v18, v19
	v_cmp_ne_u32_e32 vcc, v18, v5
	v_cndmask_b32_e64 v5, 0, 1, vcc
	v_add_u32_e32 v18, 0xfffffc10, v6
	v_or_b32_e32 v5, v19, v5
	v_lshl_or_b32 v6, v18, 12, v7
	v_cmp_gt_i32_e32 vcc, 1, v18
	v_cndmask_b32_e32 v5, v6, v5, vcc
	v_and_b32_e32 v6, 7, v5
	v_cmp_lt_i32_e32 vcc, 5, v6
	v_cmp_eq_u32_e64 s[0:1], 3, v6
	v_lshrrev_b32_e32 v5, 2, v5
	s_or_b64 vcc, s[0:1], vcc
	v_addc_co_u32_e32 v19, vcc, 0, v5, vcc
	ds_read2_b32 v[5:6], v13 offset0:40 offset1:50
	v_cmp_gt_i32_e32 vcc, 31, v18
	v_cndmask_b32_e32 v19, v0, v19, vcc
	v_cmp_ne_u32_e32 vcc, 0, v7
	v_cndmask_b32_e64 v7, 0, 1, vcc
	s_waitcnt lgkmcnt(0)
	v_lshrrev_b32_e32 v21, 16, v5
	v_mul_f16_sdwa v22, v17, v21 dst_sel:DWORD dst_unused:UNUSED_PAD src0_sel:WORD_1 src1_sel:DWORD
	v_fma_f16 v22, v17, v5, v22
	v_cvt_f32_f16_e32 v22, v22
	v_lshl_or_b32 v7, v7, 9, v0
	v_cmp_eq_u32_e32 vcc, s10, v18
	v_cndmask_b32_e32 v7, v19, v7, vcc
	v_cvt_f64_f32_e32 v[18:19], v22
	v_lshrrev_b32_e32 v8, 16, v8
	v_and_or_b32 v22, v8, s11, v7
	v_add_co_u32_e32 v3, vcc, s5, v3
	v_mul_f64 v[7:8], v[18:19], s[2:3]
	v_mov_b32_e32 v19, s4
	v_and_b32_e32 v20, 0xffff, v20
	v_addc_co_u32_e32 v4, vcc, v4, v19, vcc
	v_lshl_or_b32 v18, v22, 16, v20
	global_store_dword v[3:4], v18, off
	v_mul_f16_sdwa v5, v17, v5 dst_sel:DWORD dst_unused:UNUSED_PAD src0_sel:WORD_1 src1_sel:DWORD
	v_and_or_b32 v7, v8, s6, v7
	v_cmp_ne_u32_e32 vcc, 0, v7
	v_cndmask_b32_e64 v7, 0, 1, vcc
	v_lshrrev_b32_e32 v18, 8, v8
	v_bfe_u32 v19, v8, 20, 11
	v_and_or_b32 v7, v18, s7, v7
	v_sub_u32_e32 v20, 0x3f1, v19
	v_or_b32_e32 v18, 0x1000, v7
	v_med3_i32 v20, v20, 0, 13
	v_lshrrev_b32_e32 v22, v20, v18
	v_lshlrev_b32_e32 v20, v20, v22
	v_cmp_ne_u32_e32 vcc, v20, v18
	v_fma_f16 v5, v17, v21, -v5
	v_cndmask_b32_e64 v18, 0, 1, vcc
	v_add_u32_e32 v19, 0xfffffc10, v19
	v_cvt_f32_f16_e32 v5, v5
	v_or_b32_e32 v18, v22, v18
	v_lshl_or_b32 v20, v19, 12, v7
	v_cmp_gt_i32_e32 vcc, 1, v19
	v_cndmask_b32_e32 v18, v20, v18, vcc
	v_and_b32_e32 v20, 7, v18
	v_cmp_lt_i32_e32 vcc, 5, v20
	v_cmp_eq_u32_e64 s[0:1], 3, v20
	v_lshrrev_b32_e32 v20, 2, v18
	v_cvt_f64_f32_e32 v[17:18], v5
	s_or_b64 vcc, s[0:1], vcc
	v_addc_co_u32_e32 v5, vcc, 0, v20, vcc
	v_mul_f64 v[17:18], v[17:18], s[2:3]
	v_cmp_gt_i32_e32 vcc, 31, v19
	v_cndmask_b32_e32 v5, v0, v5, vcc
	v_cmp_ne_u32_e32 vcc, 0, v7
	v_cndmask_b32_e64 v7, 0, 1, vcc
	v_lshl_or_b32 v7, v7, 9, v0
	v_cmp_eq_u32_e32 vcc, s10, v19
	v_cndmask_b32_e32 v5, v5, v7, vcc
	v_lshrrev_b32_e32 v7, 16, v8
	v_and_or_b32 v5, v7, s11, v5
	v_and_or_b32 v7, v18, s6, v17
	v_cmp_ne_u32_e32 vcc, 0, v7
	v_cndmask_b32_e64 v7, 0, 1, vcc
	v_lshrrev_b32_e32 v8, 8, v18
	v_bfe_u32 v17, v18, 20, 11
	v_and_or_b32 v7, v8, s7, v7
	v_sub_u32_e32 v19, 0x3f1, v17
	v_or_b32_e32 v8, 0x1000, v7
	v_med3_i32 v19, v19, 0, 13
	v_lshrrev_b32_e32 v20, v19, v8
	v_lshlrev_b32_e32 v19, v19, v20
	v_cmp_ne_u32_e32 vcc, v19, v8
	v_cndmask_b32_e64 v8, 0, 1, vcc
	v_add_u32_e32 v17, 0xfffffc10, v17
	v_or_b32_e32 v8, v20, v8
	v_lshl_or_b32 v19, v17, 12, v7
	v_cmp_gt_i32_e32 vcc, 1, v17
	v_cndmask_b32_e32 v8, v19, v8, vcc
	v_and_b32_e32 v19, 7, v8
	v_cmp_lt_i32_e32 vcc, 5, v19
	v_cmp_eq_u32_e64 s[0:1], 3, v19
	v_lshrrev_b32_e32 v19, 16, v6
	v_lshrrev_b32_e32 v8, 2, v8
	s_or_b64 vcc, s[0:1], vcc
	v_mul_f16_sdwa v20, v16, v19 dst_sel:DWORD dst_unused:UNUSED_PAD src0_sel:WORD_1 src1_sel:DWORD
	v_addc_co_u32_e32 v8, vcc, 0, v8, vcc
	v_fma_f16 v20, v16, v6, v20
	v_cmp_gt_i32_e32 vcc, 31, v17
	v_cvt_f32_f16_e32 v20, v20
	v_cndmask_b32_e32 v8, v0, v8, vcc
	v_cmp_ne_u32_e32 vcc, 0, v7
	v_cndmask_b32_e64 v7, 0, 1, vcc
	v_lshl_or_b32 v7, v7, 9, v0
	v_cmp_eq_u32_e32 vcc, s10, v17
	v_cndmask_b32_e32 v17, v8, v7, vcc
	v_cvt_f64_f32_e32 v[7:8], v20
	v_lshrrev_b32_e32 v18, 16, v18
	v_and_or_b32 v17, v18, s11, v17
	v_and_b32_e32 v5, 0xffff, v5
	v_mul_f64 v[7:8], v[7:8], s[2:3]
	v_lshl_or_b32 v5, v17, 16, v5
	v_mov_b32_e32 v17, s4
	v_add_co_u32_e32 v3, vcc, s5, v3
	v_addc_co_u32_e32 v4, vcc, v4, v17, vcc
	global_store_dword v[3:4], v5, off
	v_and_or_b32 v5, v8, s6, v7
	v_cmp_ne_u32_e32 vcc, 0, v5
	v_cndmask_b32_e64 v5, 0, 1, vcc
	v_lshrrev_b32_e32 v7, 8, v8
	v_bfe_u32 v17, v8, 20, 11
	v_and_or_b32 v7, v7, s7, v5
	v_sub_u32_e32 v18, 0x3f1, v17
	v_or_b32_e32 v5, 0x1000, v7
	v_med3_i32 v18, v18, 0, 13
	v_lshrrev_b32_e32 v20, v18, v5
	v_mul_f16_sdwa v6, v16, v6 dst_sel:DWORD dst_unused:UNUSED_PAD src0_sel:WORD_1 src1_sel:DWORD
	v_lshlrev_b32_e32 v18, v18, v20
	v_fma_f16 v6, v16, v19, -v6
	v_cmp_ne_u32_e32 vcc, v18, v5
	v_cvt_f32_f16_e32 v6, v6
	v_cndmask_b32_e64 v5, 0, 1, vcc
	v_add_u32_e32 v17, 0xfffffc10, v17
	v_or_b32_e32 v5, v20, v5
	v_lshl_or_b32 v18, v17, 12, v7
	v_cmp_gt_i32_e32 vcc, 1, v17
	v_cndmask_b32_e32 v5, v18, v5, vcc
	v_and_b32_e32 v18, 7, v5
	v_lshrrev_b32_e32 v16, 2, v5
	v_cvt_f64_f32_e32 v[5:6], v6
	v_cmp_lt_i32_e32 vcc, 5, v18
	v_cmp_eq_u32_e64 s[0:1], 3, v18
	s_or_b64 vcc, s[0:1], vcc
	v_mul_f64 v[5:6], v[5:6], s[2:3]
	v_addc_co_u32_e32 v16, vcc, 0, v16, vcc
	v_cmp_gt_i32_e32 vcc, 31, v17
	v_cndmask_b32_e32 v16, v0, v16, vcc
	v_cmp_ne_u32_e32 vcc, 0, v7
	v_cndmask_b32_e64 v7, 0, 1, vcc
	v_lshl_or_b32 v7, v7, 9, v0
	v_cmp_eq_u32_e32 vcc, s10, v17
	v_and_or_b32 v5, v6, s6, v5
	v_cndmask_b32_e32 v7, v16, v7, vcc
	v_lshrrev_b32_e32 v8, 16, v8
	v_cmp_ne_u32_e32 vcc, 0, v5
	v_and_or_b32 v18, v8, s11, v7
	v_cndmask_b32_e64 v5, 0, 1, vcc
	v_lshrrev_b32_e32 v7, 8, v6
	v_bfe_u32 v8, v6, 20, 11
	v_and_or_b32 v5, v7, s7, v5
	v_sub_u32_e32 v16, 0x3f1, v8
	v_or_b32_e32 v7, 0x1000, v5
	v_med3_i32 v16, v16, 0, 13
	v_lshrrev_b32_e32 v17, v16, v7
	v_lshlrev_b32_e32 v16, v16, v17
	v_cmp_ne_u32_e32 vcc, v16, v7
	v_cndmask_b32_e64 v7, 0, 1, vcc
	v_add_u32_e32 v16, 0xfffffc10, v8
	v_or_b32_e32 v7, v17, v7
	v_lshl_or_b32 v8, v16, 12, v5
	v_cmp_gt_i32_e32 vcc, 1, v16
	v_cndmask_b32_e32 v7, v8, v7, vcc
	v_and_b32_e32 v8, 7, v7
	v_cmp_lt_i32_e32 vcc, 5, v8
	v_cmp_eq_u32_e64 s[0:1], 3, v8
	v_lshrrev_b32_e32 v7, 2, v7
	s_or_b64 vcc, s[0:1], vcc
	v_addc_co_u32_e32 v17, vcc, 0, v7, vcc
	ds_read2_b32 v[7:8], v13 offset0:60 offset1:70
	v_cmp_gt_i32_e32 vcc, 31, v16
	v_cndmask_b32_e32 v17, v0, v17, vcc
	v_cmp_ne_u32_e32 vcc, 0, v5
	v_cndmask_b32_e64 v5, 0, 1, vcc
	s_waitcnt lgkmcnt(0)
	v_lshrrev_b32_e32 v19, 16, v7
	v_mul_f16_sdwa v20, v15, v19 dst_sel:DWORD dst_unused:UNUSED_PAD src0_sel:WORD_1 src1_sel:DWORD
	v_fma_f16 v20, v15, v7, v20
	v_cvt_f32_f16_e32 v20, v20
	v_lshl_or_b32 v5, v5, 9, v0
	v_cmp_eq_u32_e32 vcc, s10, v16
	v_cndmask_b32_e32 v5, v17, v5, vcc
	v_cvt_f64_f32_e32 v[16:17], v20
	v_lshrrev_b32_e32 v6, 16, v6
	v_and_or_b32 v20, v6, s11, v5
	v_add_co_u32_e32 v3, vcc, s5, v3
	v_mul_f64 v[5:6], v[16:17], s[2:3]
	v_mov_b32_e32 v17, s4
	v_and_b32_e32 v18, 0xffff, v18
	v_addc_co_u32_e32 v4, vcc, v4, v17, vcc
	v_lshl_or_b32 v16, v20, 16, v18
	global_store_dword v[3:4], v16, off
	v_mul_f16_sdwa v7, v15, v7 dst_sel:DWORD dst_unused:UNUSED_PAD src0_sel:WORD_1 src1_sel:DWORD
	v_and_or_b32 v5, v6, s6, v5
	v_cmp_ne_u32_e32 vcc, 0, v5
	v_cndmask_b32_e64 v5, 0, 1, vcc
	v_lshrrev_b32_e32 v16, 8, v6
	v_bfe_u32 v17, v6, 20, 11
	v_and_or_b32 v5, v16, s7, v5
	v_sub_u32_e32 v18, 0x3f1, v17
	v_or_b32_e32 v16, 0x1000, v5
	v_med3_i32 v18, v18, 0, 13
	v_lshrrev_b32_e32 v20, v18, v16
	v_lshlrev_b32_e32 v18, v18, v20
	v_cmp_ne_u32_e32 vcc, v18, v16
	v_fma_f16 v7, v15, v19, -v7
	v_cndmask_b32_e64 v16, 0, 1, vcc
	v_add_u32_e32 v17, 0xfffffc10, v17
	v_cvt_f32_f16_e32 v7, v7
	v_or_b32_e32 v16, v20, v16
	v_lshl_or_b32 v18, v17, 12, v5
	v_cmp_gt_i32_e32 vcc, 1, v17
	v_cndmask_b32_e32 v16, v18, v16, vcc
	v_and_b32_e32 v18, 7, v16
	v_cmp_lt_i32_e32 vcc, 5, v18
	v_cmp_eq_u32_e64 s[0:1], 3, v18
	v_lshrrev_b32_e32 v18, 2, v16
	v_cvt_f64_f32_e32 v[15:16], v7
	s_or_b64 vcc, s[0:1], vcc
	v_addc_co_u32_e32 v7, vcc, 0, v18, vcc
	v_mul_f64 v[15:16], v[15:16], s[2:3]
	v_cmp_gt_i32_e32 vcc, 31, v17
	v_cndmask_b32_e32 v7, v0, v7, vcc
	v_cmp_ne_u32_e32 vcc, 0, v5
	v_cndmask_b32_e64 v5, 0, 1, vcc
	v_lshl_or_b32 v5, v5, 9, v0
	v_cmp_eq_u32_e32 vcc, s10, v17
	v_cndmask_b32_e32 v5, v7, v5, vcc
	v_lshrrev_b32_e32 v6, 16, v6
	v_and_or_b32 v7, v6, s11, v5
	v_and_or_b32 v5, v16, s6, v15
	v_cmp_ne_u32_e32 vcc, 0, v5
	v_cndmask_b32_e64 v5, 0, 1, vcc
	v_lshrrev_b32_e32 v6, 8, v16
	v_bfe_u32 v15, v16, 20, 11
	v_and_or_b32 v5, v6, s7, v5
	v_sub_u32_e32 v17, 0x3f1, v15
	v_or_b32_e32 v6, 0x1000, v5
	v_med3_i32 v17, v17, 0, 13
	v_lshrrev_b32_e32 v18, v17, v6
	v_lshlrev_b32_e32 v17, v17, v18
	v_cmp_ne_u32_e32 vcc, v17, v6
	v_cndmask_b32_e64 v6, 0, 1, vcc
	v_add_u32_e32 v15, 0xfffffc10, v15
	v_or_b32_e32 v6, v18, v6
	v_lshl_or_b32 v17, v15, 12, v5
	v_cmp_gt_i32_e32 vcc, 1, v15
	v_cndmask_b32_e32 v6, v17, v6, vcc
	v_and_b32_e32 v17, 7, v6
	v_cmp_lt_i32_e32 vcc, 5, v17
	v_cmp_eq_u32_e64 s[0:1], 3, v17
	v_lshrrev_b32_e32 v17, 16, v8
	v_lshrrev_b32_e32 v6, 2, v6
	s_or_b64 vcc, s[0:1], vcc
	v_mul_f16_sdwa v18, v14, v17 dst_sel:DWORD dst_unused:UNUSED_PAD src0_sel:WORD_1 src1_sel:DWORD
	v_addc_co_u32_e32 v6, vcc, 0, v6, vcc
	v_fma_f16 v18, v14, v8, v18
	v_cmp_gt_i32_e32 vcc, 31, v15
	v_cvt_f32_f16_e32 v18, v18
	v_cndmask_b32_e32 v6, v0, v6, vcc
	v_cmp_ne_u32_e32 vcc, 0, v5
	v_cndmask_b32_e64 v5, 0, 1, vcc
	v_lshl_or_b32 v5, v5, 9, v0
	v_cmp_eq_u32_e32 vcc, s10, v15
	v_cndmask_b32_e32 v15, v6, v5, vcc
	v_cvt_f64_f32_e32 v[5:6], v18
	v_lshrrev_b32_e32 v16, 16, v16
	v_and_or_b32 v15, v16, s11, v15
	v_and_b32_e32 v7, 0xffff, v7
	v_mul_f64 v[5:6], v[5:6], s[2:3]
	v_lshl_or_b32 v7, v15, 16, v7
	v_mov_b32_e32 v15, s4
	v_add_co_u32_e32 v3, vcc, s5, v3
	v_addc_co_u32_e32 v4, vcc, v4, v15, vcc
	global_store_dword v[3:4], v7, off
	v_and_or_b32 v5, v6, s6, v5
	v_cmp_ne_u32_e32 vcc, 0, v5
	v_cndmask_b32_e64 v5, 0, 1, vcc
	v_lshrrev_b32_e32 v7, 8, v6
	v_bfe_u32 v15, v6, 20, 11
	v_and_or_b32 v5, v7, s7, v5
	v_sub_u32_e32 v16, 0x3f1, v15
	v_or_b32_e32 v7, 0x1000, v5
	v_med3_i32 v16, v16, 0, 13
	v_lshrrev_b32_e32 v18, v16, v7
	v_mul_f16_sdwa v8, v14, v8 dst_sel:DWORD dst_unused:UNUSED_PAD src0_sel:WORD_1 src1_sel:DWORD
	v_lshlrev_b32_e32 v16, v16, v18
	v_fma_f16 v8, v14, v17, -v8
	v_cmp_ne_u32_e32 vcc, v16, v7
	v_cvt_f32_f16_e32 v8, v8
	v_cndmask_b32_e64 v7, 0, 1, vcc
	v_add_u32_e32 v15, 0xfffffc10, v15
	v_or_b32_e32 v7, v18, v7
	v_lshl_or_b32 v16, v15, 12, v5
	v_cmp_gt_i32_e32 vcc, 1, v15
	v_cndmask_b32_e32 v7, v16, v7, vcc
	v_and_b32_e32 v16, 7, v7
	v_lshrrev_b32_e32 v14, 2, v7
	v_cvt_f64_f32_e32 v[7:8], v8
	v_cmp_lt_i32_e32 vcc, 5, v16
	v_cmp_eq_u32_e64 s[0:1], 3, v16
	s_or_b64 vcc, s[0:1], vcc
	v_mul_f64 v[7:8], v[7:8], s[2:3]
	v_addc_co_u32_e32 v14, vcc, 0, v14, vcc
	v_cmp_gt_i32_e32 vcc, 31, v15
	v_cndmask_b32_e32 v14, v0, v14, vcc
	v_cmp_ne_u32_e32 vcc, 0, v5
	v_cndmask_b32_e64 v5, 0, 1, vcc
	v_lshl_or_b32 v5, v5, 9, v0
	v_cmp_eq_u32_e32 vcc, s10, v15
	v_cndmask_b32_e32 v5, v14, v5, vcc
	v_lshrrev_b32_e32 v6, 16, v6
	v_and_or_b32 v15, v6, s11, v5
	v_and_or_b32 v5, v8, s6, v7
	v_cmp_ne_u32_e32 vcc, 0, v5
	v_cndmask_b32_e64 v5, 0, 1, vcc
	v_lshrrev_b32_e32 v6, 8, v8
	v_and_or_b32 v7, v6, s7, v5
	v_bfe_u32 v6, v8, 20, 11
	v_sub_u32_e32 v14, 0x3f1, v6
	v_or_b32_e32 v5, 0x1000, v7
	v_med3_i32 v14, v14, 0, 13
	v_lshrrev_b32_e32 v16, v14, v5
	v_lshlrev_b32_e32 v14, v14, v16
	v_cmp_ne_u32_e32 vcc, v14, v5
	v_cndmask_b32_e64 v5, 0, 1, vcc
	v_add_u32_e32 v14, 0xfffffc10, v6
	v_or_b32_e32 v5, v16, v5
	v_lshl_or_b32 v6, v14, 12, v7
	v_cmp_gt_i32_e32 vcc, 1, v14
	v_cndmask_b32_e32 v5, v6, v5, vcc
	v_and_b32_e32 v6, 7, v5
	v_cmp_lt_i32_e32 vcc, 5, v6
	v_cmp_eq_u32_e64 s[0:1], 3, v6
	v_lshrrev_b32_e32 v5, 2, v5
	s_or_b64 vcc, s[0:1], vcc
	v_addc_co_u32_e32 v16, vcc, 0, v5, vcc
	ds_read2_b32 v[5:6], v13 offset0:80 offset1:90
	v_cmp_gt_i32_e32 vcc, 31, v14
	v_cndmask_b32_e32 v13, v0, v16, vcc
	v_cmp_ne_u32_e32 vcc, 0, v7
	v_cndmask_b32_e64 v7, 0, 1, vcc
	s_waitcnt lgkmcnt(0)
	v_lshrrev_b32_e32 v16, 16, v5
	v_mul_f16_sdwa v17, v12, v16 dst_sel:DWORD dst_unused:UNUSED_PAD src0_sel:WORD_1 src1_sel:DWORD
	v_fma_f16 v17, v12, v5, v17
	v_cvt_f32_f16_e32 v17, v17
	v_lshl_or_b32 v7, v7, 9, v0
	v_cmp_eq_u32_e32 vcc, s10, v14
	v_cndmask_b32_e32 v7, v13, v7, vcc
	v_cvt_f64_f32_e32 v[13:14], v17
	v_lshrrev_b32_e32 v8, 16, v8
	v_and_or_b32 v17, v8, s11, v7
	v_add_co_u32_e32 v3, vcc, s5, v3
	v_mul_f64 v[7:8], v[13:14], s[2:3]
	v_mov_b32_e32 v14, s4
	v_and_b32_e32 v15, 0xffff, v15
	v_addc_co_u32_e32 v4, vcc, v4, v14, vcc
	v_lshl_or_b32 v13, v17, 16, v15
	global_store_dword v[3:4], v13, off
	v_mul_f16_sdwa v5, v12, v5 dst_sel:DWORD dst_unused:UNUSED_PAD src0_sel:WORD_1 src1_sel:DWORD
	v_and_or_b32 v7, v8, s6, v7
	v_cmp_ne_u32_e32 vcc, 0, v7
	v_cndmask_b32_e64 v7, 0, 1, vcc
	v_lshrrev_b32_e32 v13, 8, v8
	v_bfe_u32 v14, v8, 20, 11
	v_and_or_b32 v7, v13, s7, v7
	v_sub_u32_e32 v15, 0x3f1, v14
	v_or_b32_e32 v13, 0x1000, v7
	v_med3_i32 v15, v15, 0, 13
	v_lshrrev_b32_e32 v17, v15, v13
	v_lshlrev_b32_e32 v15, v15, v17
	v_cmp_ne_u32_e32 vcc, v15, v13
	v_fma_f16 v5, v12, v16, -v5
	v_cndmask_b32_e64 v13, 0, 1, vcc
	v_add_u32_e32 v14, 0xfffffc10, v14
	v_cvt_f32_f16_e32 v5, v5
	v_or_b32_e32 v13, v17, v13
	v_lshl_or_b32 v15, v14, 12, v7
	v_cmp_gt_i32_e32 vcc, 1, v14
	v_cndmask_b32_e32 v13, v15, v13, vcc
	v_and_b32_e32 v15, 7, v13
	v_cmp_lt_i32_e32 vcc, 5, v15
	v_cmp_eq_u32_e64 s[0:1], 3, v15
	v_lshrrev_b32_e32 v15, 2, v13
	v_cvt_f64_f32_e32 v[12:13], v5
	s_or_b64 vcc, s[0:1], vcc
	v_addc_co_u32_e32 v5, vcc, 0, v15, vcc
	v_mul_f64 v[12:13], v[12:13], s[2:3]
	v_cmp_gt_i32_e32 vcc, 31, v14
	v_cndmask_b32_e32 v5, v0, v5, vcc
	v_cmp_ne_u32_e32 vcc, 0, v7
	v_cndmask_b32_e64 v7, 0, 1, vcc
	v_lshl_or_b32 v7, v7, 9, v0
	v_cmp_eq_u32_e32 vcc, s10, v14
	v_cndmask_b32_e32 v5, v5, v7, vcc
	v_lshrrev_b32_e32 v7, 16, v8
	v_and_or_b32 v14, v7, s11, v5
	v_and_or_b32 v5, v13, s6, v12
	v_cmp_ne_u32_e32 vcc, 0, v5
	v_cndmask_b32_e64 v5, 0, 1, vcc
	v_lshrrev_b32_e32 v7, 8, v13
	v_bfe_u32 v8, v13, 20, 11
	v_and_or_b32 v5, v7, s7, v5
	v_sub_u32_e32 v12, 0x3f1, v8
	v_or_b32_e32 v7, 0x1000, v5
	v_med3_i32 v12, v12, 0, 13
	v_lshrrev_b32_e32 v15, v12, v7
	v_lshlrev_b32_e32 v12, v12, v15
	v_cmp_ne_u32_e32 vcc, v12, v7
	v_cndmask_b32_e64 v7, 0, 1, vcc
	v_add_u32_e32 v12, 0xfffffc10, v8
	v_or_b32_e32 v7, v15, v7
	v_lshl_or_b32 v8, v12, 12, v5
	v_cmp_gt_i32_e32 vcc, 1, v12
	v_cndmask_b32_e32 v7, v8, v7, vcc
	v_and_b32_e32 v8, 7, v7
	v_cmp_lt_i32_e32 vcc, 5, v8
	v_cmp_eq_u32_e64 s[0:1], 3, v8
	v_lshrrev_b32_e32 v7, 2, v7
	s_or_b64 vcc, s[0:1], vcc
	v_addc_co_u32_e32 v7, vcc, 0, v7, vcc
	v_cmp_gt_i32_e32 vcc, 31, v12
	v_cndmask_b32_e32 v15, v0, v7, vcc
	v_mad_u64_u32 v[7:8], s[0:1], s8, v11, 0
	v_cmp_ne_u32_e32 vcc, 0, v5
	v_cndmask_b32_e64 v5, 0, 1, vcc
	v_lshl_or_b32 v5, v5, 9, v0
	v_cmp_eq_u32_e32 vcc, s10, v12
	v_lshrrev_b32_e32 v16, 16, v6
	v_cndmask_b32_e32 v15, v15, v5, vcc
	v_mov_b32_e32 v5, v8
	v_mul_f16_sdwa v8, v10, v16 dst_sel:DWORD dst_unused:UNUSED_PAD src0_sel:WORD_1 src1_sel:DWORD
	v_fma_f16 v8, v10, v6, v8
	v_cvt_f32_f16_e32 v8, v8
	v_mad_u64_u32 v[11:12], s[0:1], s9, v11, v[5:6]
	v_lshrrev_b32_e32 v5, 16, v13
	v_cvt_f64_f32_e32 v[12:13], v8
	v_mov_b32_e32 v8, v11
	v_lshlrev_b64 v[7:8], 2, v[7:8]
	v_and_or_b32 v5, v5, s11, v15
	v_mul_f64 v[11:12], v[12:13], s[2:3]
	v_and_b32_e32 v14, 0xffff, v14
	v_add_co_u32_e32 v1, vcc, v1, v7
	v_lshl_or_b32 v5, v5, 16, v14
	v_addc_co_u32_e32 v2, vcc, v2, v8, vcc
	global_store_dword v[1:2], v5, off
	v_and_or_b32 v1, v12, s6, v11
	v_cmp_ne_u32_e32 vcc, 0, v1
	v_cndmask_b32_e64 v1, 0, 1, vcc
	v_lshrrev_b32_e32 v2, 8, v12
	v_and_or_b32 v5, v2, s7, v1
	v_bfe_u32 v2, v12, 20, 11
	v_sub_u32_e32 v7, 0x3f1, v2
	v_or_b32_e32 v1, 0x1000, v5
	v_med3_i32 v7, v7, 0, 13
	v_lshrrev_b32_e32 v8, v7, v1
	v_lshlrev_b32_e32 v7, v7, v8
	v_mul_f16_sdwa v6, v10, v6 dst_sel:DWORD dst_unused:UNUSED_PAD src0_sel:WORD_1 src1_sel:DWORD
	v_cmp_ne_u32_e32 vcc, v7, v1
	v_fma_f16 v6, v10, v16, -v6
	v_cndmask_b32_e64 v1, 0, 1, vcc
	v_add_u32_e32 v7, 0xfffffc10, v2
	v_cvt_f32_f16_e32 v6, v6
	v_or_b32_e32 v1, v8, v1
	v_lshl_or_b32 v2, v7, 12, v5
	v_cmp_gt_i32_e32 vcc, 1, v7
	v_cndmask_b32_e32 v1, v2, v1, vcc
	v_and_b32_e32 v2, 7, v1
	v_cmp_lt_i32_e32 vcc, 5, v2
	v_cmp_eq_u32_e64 s[0:1], 3, v2
	v_lshrrev_b32_e32 v8, 2, v1
	v_cvt_f64_f32_e32 v[1:2], v6
	s_or_b64 vcc, s[0:1], vcc
	v_addc_co_u32_e32 v6, vcc, 0, v8, vcc
	v_mul_f64 v[1:2], v[1:2], s[2:3]
	v_cmp_gt_i32_e32 vcc, 31, v7
	v_cndmask_b32_e32 v6, v0, v6, vcc
	v_cmp_ne_u32_e32 vcc, 0, v5
	v_cndmask_b32_e64 v5, 0, 1, vcc
	v_lshl_or_b32 v5, v5, 9, v0
	v_cmp_eq_u32_e32 vcc, s10, v7
	v_cndmask_b32_e32 v5, v6, v5, vcc
	v_and_or_b32 v1, v2, s6, v1
	v_lshrrev_b32_e32 v6, 16, v12
	v_cmp_ne_u32_e32 vcc, 0, v1
	v_and_or_b32 v5, v6, s11, v5
	v_cndmask_b32_e64 v1, 0, 1, vcc
	v_lshrrev_b32_e32 v6, 8, v2
	v_bfe_u32 v7, v2, 20, 11
	v_and_or_b32 v1, v6, s7, v1
	v_sub_u32_e32 v8, 0x3f1, v7
	v_or_b32_e32 v6, 0x1000, v1
	v_med3_i32 v8, v8, 0, 13
	v_lshrrev_b32_e32 v10, v8, v6
	v_lshlrev_b32_e32 v8, v8, v10
	v_cmp_ne_u32_e32 vcc, v8, v6
	v_cndmask_b32_e64 v6, 0, 1, vcc
	v_add_u32_e32 v7, 0xfffffc10, v7
	v_or_b32_e32 v6, v10, v6
	v_lshl_or_b32 v8, v7, 12, v1
	v_cmp_gt_i32_e32 vcc, 1, v7
	v_cndmask_b32_e32 v6, v8, v6, vcc
	v_and_b32_e32 v8, 7, v6
	v_cmp_lt_i32_e32 vcc, 5, v8
	v_cmp_eq_u32_e64 s[0:1], 3, v8
	v_lshrrev_b32_e32 v6, 2, v6
	s_or_b64 vcc, s[0:1], vcc
	v_addc_co_u32_e32 v6, vcc, 0, v6, vcc
	v_cmp_gt_i32_e32 vcc, 31, v7
	v_cndmask_b32_e32 v6, v0, v6, vcc
	v_cmp_ne_u32_e32 vcc, 0, v1
	v_cndmask_b32_e64 v1, 0, 1, vcc
	v_lshl_or_b32 v0, v1, 9, v0
	v_cmp_eq_u32_e32 vcc, s10, v7
	v_cndmask_b32_e32 v0, v6, v0, vcc
	v_lshrrev_b32_e32 v1, 16, v2
	v_and_or_b32 v2, v1, s11, v0
	v_mad_u64_u32 v[0:1], s[0:1], s8, v9, v[3:4]
	v_and_b32_e32 v3, 0xffff, v5
	s_mul_i32 s0, s9, 0x50
	v_lshl_or_b32 v2, v2, 16, v3
	v_add_u32_e32 v1, s0, v1
	global_store_dword v[0:1], v2, off
.LBB0_2:
	s_endpgm
	.section	.rodata,"a",@progbits
	.p2align	6, 0x0
	.amdhsa_kernel bluestein_single_fwd_len100_dim1_half_op_CI_CI
		.amdhsa_group_segment_fixed_size 2400
		.amdhsa_private_segment_fixed_size 0
		.amdhsa_kernarg_size 104
		.amdhsa_user_sgpr_count 6
		.amdhsa_user_sgpr_private_segment_buffer 1
		.amdhsa_user_sgpr_dispatch_ptr 0
		.amdhsa_user_sgpr_queue_ptr 0
		.amdhsa_user_sgpr_kernarg_segment_ptr 1
		.amdhsa_user_sgpr_dispatch_id 0
		.amdhsa_user_sgpr_flat_scratch_init 0
		.amdhsa_user_sgpr_private_segment_size 0
		.amdhsa_uses_dynamic_stack 0
		.amdhsa_system_sgpr_private_segment_wavefront_offset 0
		.amdhsa_system_sgpr_workgroup_id_x 1
		.amdhsa_system_sgpr_workgroup_id_y 0
		.amdhsa_system_sgpr_workgroup_id_z 0
		.amdhsa_system_sgpr_workgroup_info 0
		.amdhsa_system_vgpr_workitem_id 0
		.amdhsa_next_free_vgpr 56
		.amdhsa_next_free_sgpr 20
		.amdhsa_reserve_vcc 1
		.amdhsa_reserve_flat_scratch 0
		.amdhsa_float_round_mode_32 0
		.amdhsa_float_round_mode_16_64 0
		.amdhsa_float_denorm_mode_32 3
		.amdhsa_float_denorm_mode_16_64 3
		.amdhsa_dx10_clamp 1
		.amdhsa_ieee_mode 1
		.amdhsa_fp16_overflow 0
		.amdhsa_exception_fp_ieee_invalid_op 0
		.amdhsa_exception_fp_denorm_src 0
		.amdhsa_exception_fp_ieee_div_zero 0
		.amdhsa_exception_fp_ieee_overflow 0
		.amdhsa_exception_fp_ieee_underflow 0
		.amdhsa_exception_fp_ieee_inexact 0
		.amdhsa_exception_int_div_zero 0
	.end_amdhsa_kernel
	.text
.Lfunc_end0:
	.size	bluestein_single_fwd_len100_dim1_half_op_CI_CI, .Lfunc_end0-bluestein_single_fwd_len100_dim1_half_op_CI_CI
                                        ; -- End function
	.section	.AMDGPU.csdata,"",@progbits
; Kernel info:
; codeLenInByte = 11904
; NumSgprs: 24
; NumVgprs: 56
; ScratchSize: 0
; MemoryBound: 0
; FloatMode: 240
; IeeeMode: 1
; LDSByteSize: 2400 bytes/workgroup (compile time only)
; SGPRBlocks: 2
; VGPRBlocks: 13
; NumSGPRsForWavesPerEU: 24
; NumVGPRsForWavesPerEU: 56
; Occupancy: 4
; WaveLimiterHint : 1
; COMPUTE_PGM_RSRC2:SCRATCH_EN: 0
; COMPUTE_PGM_RSRC2:USER_SGPR: 6
; COMPUTE_PGM_RSRC2:TRAP_HANDLER: 0
; COMPUTE_PGM_RSRC2:TGID_X_EN: 1
; COMPUTE_PGM_RSRC2:TGID_Y_EN: 0
; COMPUTE_PGM_RSRC2:TGID_Z_EN: 0
; COMPUTE_PGM_RSRC2:TIDIG_COMP_CNT: 0
	.type	__hip_cuid_e1ed005aeb0ca3d6,@object ; @__hip_cuid_e1ed005aeb0ca3d6
	.section	.bss,"aw",@nobits
	.globl	__hip_cuid_e1ed005aeb0ca3d6
__hip_cuid_e1ed005aeb0ca3d6:
	.byte	0                               ; 0x0
	.size	__hip_cuid_e1ed005aeb0ca3d6, 1

	.ident	"AMD clang version 19.0.0git (https://github.com/RadeonOpenCompute/llvm-project roc-6.4.0 25133 c7fe45cf4b819c5991fe208aaa96edf142730f1d)"
	.section	".note.GNU-stack","",@progbits
	.addrsig
	.addrsig_sym __hip_cuid_e1ed005aeb0ca3d6
	.amdgpu_metadata
---
amdhsa.kernels:
  - .args:
      - .actual_access:  read_only
        .address_space:  global
        .offset:         0
        .size:           8
        .value_kind:     global_buffer
      - .actual_access:  read_only
        .address_space:  global
        .offset:         8
        .size:           8
        .value_kind:     global_buffer
      - .actual_access:  read_only
        .address_space:  global
        .offset:         16
        .size:           8
        .value_kind:     global_buffer
      - .actual_access:  read_only
        .address_space:  global
        .offset:         24
        .size:           8
        .value_kind:     global_buffer
      - .actual_access:  read_only
        .address_space:  global
        .offset:         32
        .size:           8
        .value_kind:     global_buffer
      - .offset:         40
        .size:           8
        .value_kind:     by_value
      - .address_space:  global
        .offset:         48
        .size:           8
        .value_kind:     global_buffer
      - .address_space:  global
        .offset:         56
        .size:           8
        .value_kind:     global_buffer
      - .address_space:  global
        .offset:         64
        .size:           8
        .value_kind:     global_buffer
      - .address_space:  global
        .offset:         72
        .size:           8
        .value_kind:     global_buffer
      - .offset:         80
        .size:           4
        .value_kind:     by_value
      - .address_space:  global
        .offset:         88
        .size:           8
        .value_kind:     global_buffer
      - .address_space:  global
        .offset:         96
        .size:           8
        .value_kind:     global_buffer
    .group_segment_fixed_size: 2400
    .kernarg_segment_align: 8
    .kernarg_segment_size: 104
    .language:       OpenCL C
    .language_version:
      - 2
      - 0
    .max_flat_workgroup_size: 60
    .name:           bluestein_single_fwd_len100_dim1_half_op_CI_CI
    .private_segment_fixed_size: 0
    .sgpr_count:     24
    .sgpr_spill_count: 0
    .symbol:         bluestein_single_fwd_len100_dim1_half_op_CI_CI.kd
    .uniform_work_group_size: 1
    .uses_dynamic_stack: false
    .vgpr_count:     56
    .vgpr_spill_count: 0
    .wavefront_size: 64
amdhsa.target:   amdgcn-amd-amdhsa--gfx906
amdhsa.version:
  - 1
  - 2
...

	.end_amdgpu_metadata
